;; amdgpu-corpus repo=ROCm/rocFFT kind=compiled arch=gfx906 opt=O3
	.text
	.amdgcn_target "amdgcn-amd-amdhsa--gfx906"
	.amdhsa_code_object_version 6
	.protected	bluestein_single_back_len676_dim1_sp_op_CI_CI ; -- Begin function bluestein_single_back_len676_dim1_sp_op_CI_CI
	.globl	bluestein_single_back_len676_dim1_sp_op_CI_CI
	.p2align	8
	.type	bluestein_single_back_len676_dim1_sp_op_CI_CI,@function
bluestein_single_back_len676_dim1_sp_op_CI_CI: ; @bluestein_single_back_len676_dim1_sp_op_CI_CI
; %bb.0:
	s_load_dwordx4 s[16:19], s[4:5], 0x28
	v_mul_u32_u24_e32 v1, 0x4ed, v0
	v_add_u32_sdwa v64, s6, v1 dst_sel:DWORD dst_unused:UNUSED_PAD src0_sel:DWORD src1_sel:WORD_1
	v_mov_b32_e32 v65, 0
	s_waitcnt lgkmcnt(0)
	v_cmp_gt_u64_e32 vcc, s[16:17], v[64:65]
	s_and_saveexec_b64 s[0:1], vcc
	s_cbranch_execz .LBB0_10
; %bb.1:
	s_load_dwordx4 s[0:3], s[4:5], 0x18
	s_load_dwordx4 s[12:15], s[4:5], 0x0
	v_mov_b32_e32 v2, 52
	v_mul_lo_u16_sdwa v1, v1, v2 dst_sel:DWORD dst_unused:UNUSED_PAD src0_sel:WORD_1 src1_sel:DWORD
	v_sub_u16_e32 v96, v0, v1
	s_waitcnt lgkmcnt(0)
	s_load_dwordx4 s[8:11], s[0:1], 0x0
	v_lshlrev_b32_e32 v95, 3, v96
	v_add_u32_e32 v99, 0x400, v95
	s_load_dwordx2 s[4:5], s[4:5], 0x38
	s_waitcnt lgkmcnt(0)
	v_mad_u64_u32 v[0:1], s[0:1], s10, v64, 0
	v_mad_u64_u32 v[2:3], s[0:1], s8, v96, 0
	s_mul_hi_u32 s6, s8, 0x1a0
	s_mul_i32 s7, s8, 0x1a0
	v_mad_u64_u32 v[4:5], s[0:1], s11, v64, v[1:2]
	v_mad_u64_u32 v[5:6], s[0:1], s9, v96, v[3:4]
	v_mov_b32_e32 v1, v4
	v_lshlrev_b64 v[0:1], 3, v[0:1]
	v_mov_b32_e32 v6, s19
	v_mov_b32_e32 v3, v5
	v_add_co_u32_e32 v4, vcc, s18, v0
	v_addc_co_u32_e32 v5, vcc, v6, v1, vcc
	v_lshlrev_b64 v[0:1], 3, v[2:3]
	v_mov_b32_e32 v2, s13
	v_add_co_u32_e32 v0, vcc, v4, v0
	v_addc_co_u32_e32 v1, vcc, v5, v1, vcc
	v_add_co_u32_e32 v97, vcc, s12, v95
	v_addc_co_u32_e64 v25, s[0:1], 0, v2, vcc
	s_mul_i32 s0, s9, 0x1a0
	s_add_i32 s6, s6, s0
	v_mov_b32_e32 v3, s6
	v_add_co_u32_e64 v2, s[0:1], s7, v0
	v_addc_co_u32_e64 v3, s[0:1], v1, v3, s[0:1]
	v_mov_b32_e32 v5, s6
	v_add_co_u32_e64 v4, s[0:1], s7, v2
	v_addc_co_u32_e64 v5, s[0:1], v3, v5, s[0:1]
	;; [unrolled: 3-line block ×3, first 2 shown]
	global_load_dwordx2 v[8:9], v[0:1], off
	global_load_dwordx2 v[10:11], v[2:3], off
	;; [unrolled: 1-line block ×4, first 2 shown]
	global_load_dwordx2 v[89:90], v95, s[12:13]
	global_load_dwordx2 v[85:86], v95, s[12:13] offset:416
	global_load_dwordx2 v[81:82], v95, s[12:13] offset:832
	;; [unrolled: 1-line block ×3, first 2 shown]
	v_mov_b32_e32 v1, s6
	v_add_co_u32_e64 v0, s[0:1], s7, v6
	v_addc_co_u32_e64 v1, s[0:1], v7, v1, s[0:1]
	global_load_dwordx2 v[2:3], v[0:1], off
	v_mov_b32_e32 v4, s6
	v_add_co_u32_e64 v0, s[0:1], s7, v0
	v_addc_co_u32_e64 v1, s[0:1], v1, v4, s[0:1]
	global_load_dwordx2 v[4:5], v[0:1], off
	;; [unrolled: 4-line block ×4, first 2 shown]
	global_load_dwordx2 v[87:88], v95, s[12:13] offset:1664
	global_load_dwordx2 v[83:84], v95, s[12:13] offset:2080
	;; [unrolled: 1-line block ×4, first 2 shown]
	v_mov_b32_e32 v18, s6
	v_add_co_u32_e64 v0, s[0:1], s7, v0
	v_addc_co_u32_e64 v1, s[0:1], v1, v18, s[0:1]
	global_load_dwordx2 v[18:19], v[0:1], off
	v_mov_b32_e32 v20, s6
	v_add_co_u32_e64 v0, s[0:1], s7, v0
	v_addc_co_u32_e64 v1, s[0:1], v1, v20, s[0:1]
	global_load_dwordx2 v[20:21], v[0:1], off
	global_load_dwordx2 v[77:78], v95, s[12:13] offset:3328
	global_load_dwordx2 v[69:70], v95, s[12:13] offset:3744
	v_mov_b32_e32 v22, s6
	v_add_co_u32_e64 v0, s[0:1], s7, v0
	v_addc_co_u32_e64 v1, s[0:1], v1, v22, s[0:1]
	s_movk_i32 s0, 0x1000
	v_add_co_u32_e64 v24, s[0:1], s0, v97
	v_addc_co_u32_e64 v25, s[0:1], 0, v25, s[0:1]
	global_load_dwordx2 v[22:23], v[0:1], off
	v_mov_b32_e32 v26, s6
	v_add_co_u32_e64 v0, s[0:1], s7, v0
	v_addc_co_u32_e64 v1, s[0:1], v1, v26, s[0:1]
	global_load_dwordx2 v[71:72], v[24:25], off offset:64
	global_load_dwordx2 v[27:28], v[0:1], off
	global_load_dwordx2 v[65:66], v[24:25], off offset:480
	v_add_co_u32_e64 v0, s[0:1], s7, v0
	v_addc_co_u32_e64 v1, s[0:1], v1, v26, s[0:1]
	global_load_dwordx2 v[29:30], v[0:1], off
	global_load_dwordx2 v[67:68], v[24:25], off offset:896
	v_add_u32_e32 v26, 0x800, v95
	s_load_dwordx4 s[8:11], s[2:3], 0x0
	s_mov_b32 s2, 0x3f62ad3f
	s_mov_b32 s1, 0x3f116cb1
	s_mov_b32 s0, 0x3df6dbef
	s_mov_b32 s3, 0xbeb58ec6
	s_mov_b32 s6, 0xbf3f9e67
	s_mov_b32 s7, 0xbf788fa5
	s_movk_i32 s12, 0x4f
	s_waitcnt vmcnt(21)
	v_mul_f32_e32 v0, v9, v90
	v_mul_f32_e32 v1, v8, v90
	v_fmac_f32_e32 v0, v8, v89
	v_fma_f32 v1, v9, v89, -v1
	s_waitcnt vmcnt(20)
	v_mul_f32_e32 v8, v11, v86
	v_mul_f32_e32 v9, v10, v86
	v_fmac_f32_e32 v8, v10, v85
	v_fma_f32 v9, v11, v85, -v9
	ds_write2_b64 v95, v[0:1], v[8:9] offset1:52
	s_waitcnt vmcnt(19)
	v_mul_f32_e32 v0, v13, v82
	v_mul_f32_e32 v1, v12, v82
	s_waitcnt vmcnt(18)
	v_mul_f32_e32 v8, v15, v76
	v_mul_f32_e32 v9, v14, v76
	v_fmac_f32_e32 v0, v12, v81
	v_fma_f32 v1, v13, v81, -v1
	v_fmac_f32_e32 v8, v14, v75
	v_fma_f32 v9, v15, v75, -v9
	ds_write2_b64 v95, v[0:1], v[8:9] offset0:104 offset1:156
	s_waitcnt vmcnt(13)
	v_mul_f32_e32 v0, v3, v88
	v_mul_f32_e32 v1, v2, v88
	v_fmac_f32_e32 v0, v2, v87
	v_fma_f32 v1, v3, v87, -v1
	s_waitcnt vmcnt(12)
	v_mul_f32_e32 v2, v5, v84
	v_mul_f32_e32 v3, v4, v84
	v_fmac_f32_e32 v2, v4, v83
	v_fma_f32 v3, v5, v83, -v3
	ds_write2_b64 v99, v[0:1], v[2:3] offset0:80 offset1:132
	s_waitcnt vmcnt(11)
	v_mul_f32_e32 v0, v7, v80
	v_mul_f32_e32 v1, v6, v80
	s_waitcnt vmcnt(10)
	v_mul_f32_e32 v2, v17, v74
	v_mul_f32_e32 v3, v16, v74
	v_fmac_f32_e32 v0, v6, v79
	v_fma_f32 v1, v7, v79, -v1
	v_fmac_f32_e32 v2, v16, v73
	v_fma_f32 v3, v17, v73, -v3
	ds_write2_b64 v26, v[0:1], v[2:3] offset0:56 offset1:108
	s_waitcnt vmcnt(7)
	v_mul_f32_e32 v0, v19, v78
	v_mul_f32_e32 v1, v18, v78
	s_waitcnt vmcnt(6)
	v_mul_f32_e32 v2, v21, v70
	v_mul_f32_e32 v3, v20, v70
	v_fmac_f32_e32 v0, v18, v77
	v_fma_f32 v1, v19, v77, -v1
	;; [unrolled: 11-line block ×3, first 2 shown]
	v_fmac_f32_e32 v2, v27, v65
	v_fma_f32 v3, v28, v65, -v3
	v_add_u32_e32 v27, 0x1000, v95
	ds_write2_b64 v27, v[0:1], v[2:3] offset0:8 offset1:60
	s_waitcnt vmcnt(0)
	v_mul_f32_e32 v0, v30, v68
	v_mul_f32_e32 v1, v29, v68
	v_fmac_f32_e32 v0, v29, v67
	v_fma_f32 v1, v30, v67, -v1
	ds_write_b64 v95, v[0:1] offset:4992
	s_waitcnt lgkmcnt(0)
	; wave barrier
	s_waitcnt lgkmcnt(0)
	ds_read2_b64 v[14:17], v95 offset1:52
	ds_read2_b64 v[18:21], v95 offset0:104 offset1:156
	ds_read2_b64 v[4:7], v99 offset0:80 offset1:132
	;; [unrolled: 1-line block ×5, first 2 shown]
	ds_read_b64 v[28:29], v95 offset:4992
	s_waitcnt lgkmcnt(6)
	v_add_f32_e32 v12, v14, v16
	v_add_f32_e32 v13, v15, v17
	s_waitcnt lgkmcnt(5)
	v_add_f32_e32 v12, v12, v18
	v_add_f32_e32 v13, v13, v19
	v_add_f32_e32 v12, v12, v20
	v_add_f32_e32 v13, v13, v21
	s_waitcnt lgkmcnt(4)
	v_add_f32_e32 v12, v12, v4
	v_add_f32_e32 v13, v13, v5
	;; [unrolled: 5-line block ×5, first 2 shown]
	v_add_f32_e32 v12, v12, v24
	s_waitcnt lgkmcnt(0)
	v_add_f32_e32 v30, v28, v16
	v_add_f32_e32 v31, v29, v17
	v_sub_f32_e32 v16, v16, v28
	v_sub_f32_e32 v17, v17, v29
	v_add_f32_e32 v13, v13, v25
	v_add_f32_e32 v12, v12, v28
	v_mul_f32_e32 v28, 0xbeedf032, v17
	v_mul_f32_e32 v32, 0xbeedf032, v16
	;; [unrolled: 1-line block ×12, first 2 shown]
	v_add_f32_e32 v13, v13, v29
	v_fma_f32 v29, v30, s2, -v28
	v_mov_b32_e32 v33, v32
	v_fmac_f32_e32 v28, 0x3f62ad3f, v30
	v_fma_f32 v35, v30, s1, -v34
	v_mov_b32_e32 v37, v36
	v_fmac_f32_e32 v34, 0x3f116cb1, v30
	;; [unrolled: 3-line block ×6, first 2 shown]
	v_add_f32_e32 v29, v14, v29
	v_fmac_f32_e32 v33, 0x3f62ad3f, v31
	v_add_f32_e32 v28, v14, v28
	v_fma_f32 v32, v31, s2, -v32
	v_add_f32_e32 v35, v14, v35
	v_fmac_f32_e32 v37, 0x3f116cb1, v31
	v_add_f32_e32 v34, v14, v34
	v_fma_f32 v36, v31, s1, -v36
	;; [unrolled: 4-line block ×6, first 2 shown]
	v_add_f32_e32 v17, v25, v19
	v_sub_f32_e32 v19, v19, v25
	v_add_f32_e32 v33, v15, v33
	v_add_f32_e32 v32, v15, v32
	;; [unrolled: 1-line block ×13, first 2 shown]
	v_sub_f32_e32 v18, v18, v24
	v_mul_f32_e32 v24, 0xbf52af12, v19
	v_fma_f32 v25, v16, s1, -v24
	v_add_f32_e32 v25, v25, v29
	v_mul_f32_e32 v29, 0xbf52af12, v18
	v_fmac_f32_e32 v24, 0x3f116cb1, v16
	v_mov_b32_e32 v30, v29
	v_add_f32_e32 v24, v24, v28
	v_fma_f32 v28, v17, s1, -v29
	v_mul_f32_e32 v29, 0xbf6f5d39, v19
	v_fma_f32 v31, v16, s3, -v29
	v_fmac_f32_e32 v29, 0xbeb58ec6, v16
	v_fmac_f32_e32 v30, 0x3f116cb1, v17
	v_add_f32_e32 v28, v28, v32
	v_mul_f32_e32 v32, 0xbf6f5d39, v18
	v_add_f32_e32 v29, v29, v34
	v_mul_f32_e32 v34, 0xbe750f2a, v19
	v_add_f32_e32 v30, v30, v33
	v_add_f32_e32 v31, v31, v35
	v_mov_b32_e32 v33, v32
	v_fma_f32 v32, v17, s3, -v32
	v_fma_f32 v35, v16, s7, -v34
	v_fmac_f32_e32 v34, 0xbf788fa5, v16
	v_fmac_f32_e32 v33, 0xbeb58ec6, v17
	v_add_f32_e32 v32, v32, v36
	v_mul_f32_e32 v36, 0xbe750f2a, v18
	v_add_f32_e32 v34, v34, v38
	v_mul_f32_e32 v38, 0x3f29c268, v19
	v_add_f32_e32 v33, v33, v37
	v_add_f32_e32 v35, v35, v39
	v_mov_b32_e32 v37, v36
	v_fma_f32 v36, v17, s7, -v36
	;; [unrolled: 11-line block ×3, first 2 shown]
	v_fma_f32 v43, v16, s0, -v42
	v_fmac_f32_e32 v42, 0x3df6dbef, v16
	v_mul_f32_e32 v19, 0x3eedf032, v19
	v_add_f32_e32 v40, v40, v44
	v_mul_f32_e32 v44, 0x3f7e222b, v18
	v_add_f32_e32 v42, v42, v46
	v_fma_f32 v46, v16, s2, -v19
	v_mul_f32_e32 v18, 0x3eedf032, v18
	v_fmac_f32_e32 v19, 0x3f62ad3f, v16
	v_fmac_f32_e32 v41, 0xbf3f9e67, v17
	v_add_f32_e32 v14, v19, v14
	v_fma_f32 v16, v17, s2, -v18
	v_sub_f32_e32 v19, v21, v23
	v_add_f32_e32 v41, v41, v45
	v_add_f32_e32 v43, v43, v47
	v_mov_b32_e32 v45, v44
	v_mov_b32_e32 v47, v18
	v_add_f32_e32 v15, v16, v15
	v_add_f32_e32 v16, v22, v20
	v_sub_f32_e32 v18, v20, v22
	v_mul_f32_e32 v20, 0xbf7e222b, v19
	v_fmac_f32_e32 v45, 0x3df6dbef, v17
	v_fma_f32 v44, v17, s0, -v44
	v_fmac_f32_e32 v47, 0x3f62ad3f, v17
	v_add_f32_e32 v17, v23, v21
	v_fma_f32 v21, v16, s0, -v20
	v_mul_f32_e32 v22, 0xbf7e222b, v18
	v_fmac_f32_e32 v20, 0x3df6dbef, v16
	v_mov_b32_e32 v23, v22
	v_add_f32_e32 v20, v20, v24
	v_fma_f32 v22, v17, s0, -v22
	v_mul_f32_e32 v24, 0xbe750f2a, v19
	v_add_f32_e32 v21, v21, v25
	v_fmac_f32_e32 v23, 0x3df6dbef, v17
	v_add_f32_e32 v22, v22, v28
	v_fma_f32 v25, v16, s7, -v24
	v_mul_f32_e32 v28, 0xbe750f2a, v18
	v_fmac_f32_e32 v24, 0xbf788fa5, v16
	v_add_f32_e32 v23, v23, v30
	v_mov_b32_e32 v30, v28
	v_add_f32_e32 v24, v24, v29
	v_fma_f32 v28, v17, s7, -v28
	v_mul_f32_e32 v29, 0x3f6f5d39, v19
	v_add_f32_e32 v25, v25, v31
	v_fmac_f32_e32 v30, 0xbf788fa5, v17
	v_add_f32_e32 v28, v28, v32
	v_fma_f32 v31, v16, s3, -v29
	v_mul_f32_e32 v32, 0x3f6f5d39, v18
	v_fmac_f32_e32 v29, 0xbeb58ec6, v16
	v_add_f32_e32 v30, v30, v33
	;; [unrolled: 11-line block ×3, first 2 shown]
	v_mov_b32_e32 v37, v36
	v_add_f32_e32 v34, v34, v38
	v_fma_f32 v36, v17, s2, -v36
	v_mul_f32_e32 v38, 0xbf52af12, v19
	v_add_f32_e32 v35, v35, v39
	v_fmac_f32_e32 v37, 0x3f62ad3f, v17
	v_add_f32_e32 v36, v36, v40
	v_fma_f32 v39, v16, s1, -v38
	v_mul_f32_e32 v40, 0xbf52af12, v18
	v_mul_f32_e32 v18, 0xbf29c268, v18
	v_add_f32_e32 v37, v37, v41
	v_add_f32_e32 v39, v39, v43
	v_mov_b32_e32 v41, v40
	v_fmac_f32_e32 v38, 0x3f116cb1, v16
	v_mul_f32_e32 v19, 0xbf29c268, v19
	v_mov_b32_e32 v43, v18
	v_fmac_f32_e32 v41, 0x3f116cb1, v17
	v_add_f32_e32 v38, v38, v42
	v_fma_f32 v40, v17, s1, -v40
	v_fma_f32 v42, v16, s6, -v19
	v_fmac_f32_e32 v43, 0xbf3f9e67, v17
	v_fmac_f32_e32 v19, 0xbf3f9e67, v16
	v_fma_f32 v16, v17, s6, -v18
	v_add_f32_e32 v17, v11, v5
	v_sub_f32_e32 v5, v5, v11
	v_add_f32_e32 v15, v16, v15
	v_add_f32_e32 v16, v10, v4
	v_sub_f32_e32 v4, v4, v10
	v_mul_f32_e32 v10, 0xbf6f5d39, v5
	v_fma_f32 v11, v16, s3, -v10
	v_mul_f32_e32 v18, 0xbf6f5d39, v4
	v_fmac_f32_e32 v10, 0xbeb58ec6, v16
	v_add_f32_e32 v14, v19, v14
	v_mov_b32_e32 v19, v18
	v_add_f32_e32 v10, v10, v20
	v_fma_f32 v18, v17, s3, -v18
	v_mul_f32_e32 v20, 0x3f29c268, v5
	v_add_f32_e32 v11, v11, v21
	v_fmac_f32_e32 v19, 0xbeb58ec6, v17
	v_add_f32_e32 v18, v18, v22
	v_fma_f32 v21, v16, s6, -v20
	v_mul_f32_e32 v22, 0x3f29c268, v4
	v_fmac_f32_e32 v20, 0xbf3f9e67, v16
	v_add_f32_e32 v19, v19, v23
	v_mov_b32_e32 v23, v22
	v_add_f32_e32 v20, v20, v24
	v_fma_f32 v22, v17, s6, -v22
	v_mul_f32_e32 v24, 0x3eedf032, v5
	v_add_f32_e32 v21, v21, v25
	v_fmac_f32_e32 v23, 0xbf3f9e67, v17
	v_add_f32_e32 v22, v22, v28
	;; [unrolled: 11-line block ×3, first 2 shown]
	v_fma_f32 v31, v16, s0, -v29
	v_mul_f32_e32 v32, 0xbf7e222b, v4
	v_fmac_f32_e32 v29, 0x3df6dbef, v16
	v_add_f32_e32 v30, v30, v33
	v_mov_b32_e32 v33, v32
	v_add_f32_e32 v29, v29, v34
	v_fma_f32 v32, v17, s0, -v32
	v_mul_f32_e32 v34, 0x3e750f2a, v5
	v_add_f32_e32 v31, v31, v35
	v_add_f32_e32 v32, v32, v36
	v_fma_f32 v35, v16, s7, -v34
	v_mul_f32_e32 v36, 0x3e750f2a, v4
	v_mul_f32_e32 v4, 0x3f52af12, v4
	v_add_f32_e32 v35, v35, v39
	v_fmac_f32_e32 v34, 0xbf788fa5, v16
	v_mul_f32_e32 v5, 0x3f52af12, v5
	v_mov_b32_e32 v39, v4
	v_fma_f32 v4, v17, s1, -v4
	v_add_f32_e32 v34, v34, v38
	v_fma_f32 v38, v16, s1, -v5
	v_fmac_f32_e32 v5, 0x3f116cb1, v16
	v_add_f32_e32 v4, v4, v15
	v_add_f32_e32 v15, v9, v7
	v_sub_f32_e32 v7, v7, v9
	v_add_f32_e32 v5, v5, v14
	v_add_f32_e32 v14, v8, v6
	v_sub_f32_e32 v6, v6, v8
	v_mul_f32_e32 v8, 0xbf29c268, v7
	v_fma_f32 v9, v14, s6, -v8
	v_fmac_f32_e32 v33, 0x3df6dbef, v17
	v_add_f32_e32 v9, v9, v11
	v_mul_f32_e32 v11, 0xbf29c268, v6
	v_fmac_f32_e32 v8, 0xbf3f9e67, v14
	v_add_f32_e32 v33, v33, v37
	v_mov_b32_e32 v37, v36
	v_mov_b32_e32 v16, v11
	v_add_f32_e32 v8, v8, v10
	v_fma_f32 v10, v15, s6, -v11
	v_mul_f32_e32 v11, 0x3f7e222b, v7
	v_fmac_f32_e32 v37, 0xbf788fa5, v17
	v_fma_f32 v36, v17, s7, -v36
	v_fmac_f32_e32 v39, 0x3f116cb1, v17
	v_fmac_f32_e32 v16, 0xbf3f9e67, v15
	v_add_f32_e32 v10, v10, v18
	v_fma_f32 v17, v14, s0, -v11
	v_mul_f32_e32 v18, 0x3f7e222b, v6
	v_fmac_f32_e32 v11, 0x3df6dbef, v14
	v_add_f32_e32 v16, v16, v19
	v_mov_b32_e32 v19, v18
	v_add_f32_e32 v11, v11, v20
	v_fma_f32 v18, v15, s0, -v18
	v_mul_f32_e32 v20, 0xbf52af12, v7
	v_add_f32_e32 v17, v17, v21
	v_fmac_f32_e32 v19, 0x3df6dbef, v15
	v_add_f32_e32 v18, v18, v22
	v_fma_f32 v21, v14, s1, -v20
	v_mul_f32_e32 v22, 0xbf52af12, v6
	v_fmac_f32_e32 v20, 0x3f116cb1, v14
	v_add_f32_e32 v19, v19, v23
	v_mov_b32_e32 v23, v22
	v_add_f32_e32 v20, v20, v24
	v_fma_f32 v22, v15, s1, -v22
	v_mul_f32_e32 v24, 0x3e750f2a, v7
	v_add_f32_e32 v21, v21, v25
	;; [unrolled: 11-line block ×3, first 2 shown]
	v_add_f32_e32 v47, v47, v51
	v_add_f32_e32 v25, v25, v31
	v_add_f32_e32 v28, v28, v32
	v_fma_f32 v31, v14, s2, -v29
	v_mul_f32_e32 v32, 0x3eedf032, v6
	v_mul_f32_e32 v6, 0xbf6f5d39, v6
	v_add_f32_e32 v45, v45, v49
	v_add_f32_e32 v46, v46, v50
	v_add_f32_e32 v40, v40, v44
	v_add_f32_e32 v43, v43, v47
	v_add_f32_e32 v31, v31, v35
	v_mov_b32_e32 v35, v6
	v_add_f32_e32 v41, v41, v45
	v_add_f32_e32 v42, v42, v46
	;; [unrolled: 1-line block ×4, first 2 shown]
	v_fmac_f32_e32 v30, 0xbf788fa5, v15
	v_fmac_f32_e32 v29, 0x3f62ad3f, v14
	v_mul_f32_e32 v7, 0xbf6f5d39, v7
	v_fmac_f32_e32 v35, 0xbeb58ec6, v15
	v_sub_f32_e32 v40, v0, v2
	v_add_f32_e32 v37, v37, v41
	v_add_f32_e32 v38, v38, v42
	;; [unrolled: 1-line block ×3, first 2 shown]
	v_mov_b32_e32 v33, v32
	v_add_f32_e32 v29, v29, v34
	v_fma_f32 v32, v15, s2, -v32
	v_fma_f32 v34, v14, s3, -v7
	v_add_f32_e32 v35, v35, v39
	v_fmac_f32_e32 v7, 0xbeb58ec6, v14
	v_add_f32_e32 v39, v3, v1
	v_sub_f32_e32 v41, v1, v3
	v_mul_f32_e32 v3, 0xbe750f2a, v40
	v_fmac_f32_e32 v33, 0x3f62ad3f, v15
	v_add_f32_e32 v32, v32, v36
	v_add_f32_e32 v34, v34, v38
	;; [unrolled: 1-line block ×3, first 2 shown]
	v_fma_f32 v5, v15, s3, -v6
	v_add_f32_e32 v38, v2, v0
	v_mov_b32_e32 v1, v3
	v_mul_f32_e32 v6, 0x3eedf032, v41
	v_add_f32_e32 v33, v33, v37
	v_add_f32_e32 v37, v5, v4
	v_mul_f32_e32 v2, 0xbe750f2a, v41
	v_fmac_f32_e32 v1, 0xbf788fa5, v39
	v_fma_f32 v3, v39, s7, -v3
	v_fma_f32 v4, v38, s2, -v6
	v_fmac_f32_e32 v6, 0x3f62ad3f, v38
	v_fma_f32 v0, v38, s7, -v2
	v_add_f32_e32 v1, v1, v16
	v_fmac_f32_e32 v2, 0xbf788fa5, v38
	v_add_f32_e32 v3, v3, v10
	v_mul_f32_e32 v7, 0x3eedf032, v40
	v_add_f32_e32 v6, v6, v11
	v_mul_f32_e32 v10, 0xbf29c268, v41
	v_mul_f32_e32 v11, 0xbf29c268, v40
	;; [unrolled: 1-line block ×3, first 2 shown]
	v_add_f32_e32 v0, v0, v9
	v_add_f32_e32 v2, v2, v8
	;; [unrolled: 1-line block ×3, first 2 shown]
	v_mov_b32_e32 v5, v7
	v_fma_f32 v8, v38, s6, -v10
	v_mov_b32_e32 v9, v11
	v_fma_f32 v14, v38, s1, -v16
	v_mul_f32_e32 v17, 0x3f52af12, v40
	v_fmac_f32_e32 v5, 0x3f62ad3f, v39
	v_add_f32_e32 v8, v8, v21
	v_fmac_f32_e32 v9, 0xbf3f9e67, v39
	v_fmac_f32_e32 v10, 0xbf3f9e67, v38
	v_add_f32_e32 v14, v14, v25
	v_mov_b32_e32 v15, v17
	v_fmac_f32_e32 v16, 0x3f116cb1, v38
	v_fma_f32 v17, v39, s1, -v17
	v_mul_f32_e32 v21, 0xbf6f5d39, v40
	v_mul_f32_e32 v25, 0x3f7e222b, v40
	v_add_f32_e32 v5, v5, v19
	v_fma_f32 v7, v39, s2, -v7
	v_add_f32_e32 v9, v9, v23
	v_add_f32_e32 v10, v10, v20
	v_fma_f32 v11, v39, s6, -v11
	v_add_f32_e32 v16, v16, v24
	v_add_f32_e32 v17, v17, v28
	v_mul_f32_e32 v20, 0xbf6f5d39, v41
	v_mov_b32_e32 v19, v21
	v_mul_f32_e32 v24, 0x3f7e222b, v41
	v_mov_b32_e32 v23, v25
	v_mul_lo_u16_e32 v28, 13, v96
	v_add_f32_e32 v7, v7, v18
	v_add_f32_e32 v11, v11, v22
	v_fmac_f32_e32 v15, 0x3f116cb1, v39
	v_fma_f32 v18, v38, s3, -v20
	v_fmac_f32_e32 v19, 0xbeb58ec6, v39
	v_fmac_f32_e32 v20, 0xbeb58ec6, v38
	v_fma_f32 v21, v39, s3, -v21
	v_fma_f32 v22, v38, s0, -v24
	v_fmac_f32_e32 v23, 0x3df6dbef, v39
	v_fmac_f32_e32 v24, 0x3df6dbef, v38
	v_fma_f32 v25, v39, s0, -v25
	v_lshlrev_b32_e32 v98, 3, v28
	v_add_f32_e32 v15, v15, v30
	v_add_f32_e32 v18, v18, v31
	;; [unrolled: 1-line block ×9, first 2 shown]
	s_waitcnt lgkmcnt(0)
	; wave barrier
	ds_write2_b64 v98, v[12:13], v[0:1] offset1:1
	ds_write2_b64 v98, v[4:5], v[8:9] offset0:2 offset1:3
	ds_write2_b64 v98, v[14:15], v[18:19] offset0:4 offset1:5
	ds_write2_b64 v98, v[22:23], v[24:25] offset0:6 offset1:7
	ds_write2_b64 v98, v[20:21], v[16:17] offset0:8 offset1:9
	ds_write2_b64 v98, v[10:11], v[6:7] offset0:10 offset1:11
	ds_write_b64 v98, v[2:3] offset:96
	v_mul_lo_u16_sdwa v0, v96, s12 dst_sel:DWORD dst_unused:UNUSED_PAD src0_sel:BYTE_0 src1_sel:DWORD
	v_lshrrev_b16_e32 v28, 10, v0
	v_mul_lo_u16_e32 v0, 13, v28
	v_sub_u16_e32 v0, v96, v0
	v_and_b32_e32 v29, 0xff, v0
	v_mul_u32_u24_e32 v0, 12, v29
	v_lshlrev_b32_e32 v24, 3, v0
	s_waitcnt lgkmcnt(0)
	; wave barrier
	s_waitcnt lgkmcnt(0)
	global_load_dwordx4 v[12:15], v24, s[14:15]
	global_load_dwordx4 v[8:11], v24, s[14:15] offset:16
	global_load_dwordx4 v[4:7], v24, s[14:15] offset:32
	;; [unrolled: 1-line block ×5, first 2 shown]
	ds_read2_b64 v[42:45], v95 offset1:52
	ds_read2_b64 v[30:33], v95 offset0:104 offset1:156
	ds_read2_b64 v[34:37], v99 offset0:80 offset1:132
	;; [unrolled: 1-line block ×5, first 2 shown]
	ds_read_b64 v[24:25], v95 offset:4992
	v_mul_u32_u24_e32 v28, 0xa9, v28
	s_waitcnt lgkmcnt(0)
	; wave barrier
	s_waitcnt vmcnt(5) lgkmcnt(0)
	v_mul_f32_e32 v38, v45, v13
	v_fma_f32 v58, v44, v12, -v38
	v_mul_f32_e32 v44, v44, v13
	v_mul_f32_e32 v38, v31, v15
	v_fmac_f32_e32 v44, v45, v12
	v_fma_f32 v45, v30, v14, -v38
	v_mul_f32_e32 v59, v30, v15
	s_waitcnt vmcnt(4)
	v_mul_f32_e32 v30, v33, v9
	v_fma_f32 v60, v32, v8, -v30
	v_mul_f32_e32 v30, v35, v11
	v_fma_f32 v39, v34, v10, -v30
	v_mul_f32_e32 v38, v34, v11
	s_waitcnt vmcnt(3)
	v_mul_f32_e32 v30, v37, v5
	v_fmac_f32_e32 v38, v35, v10
	v_fma_f32 v35, v36, v4, -v30
	v_mul_f32_e32 v34, v36, v5
	s_waitcnt vmcnt(2)
	v_mul_f32_e32 v36, v51, v3
	v_fmac_f32_e32 v34, v37, v4
	;; [unrolled: 5-line block ×3, first 2 shown]
	v_fma_f32 v50, v24, v18, -v50
	v_mul_f32_e32 v51, v24, v19
	v_add_f32_e32 v24, v42, v58
	v_fmac_f32_e32 v59, v31, v14
	v_mul_f32_e32 v61, v32, v9
	v_fmac_f32_e32 v51, v25, v18
	v_add_f32_e32 v25, v43, v44
	v_add_f32_e32 v24, v24, v45
	v_fmac_f32_e32 v61, v33, v8
	v_add_f32_e32 v25, v25, v59
	v_add_f32_e32 v24, v24, v60
	v_mul_f32_e32 v30, v47, v7
	v_add_f32_e32 v25, v25, v61
	v_add_f32_e32 v24, v24, v39
	v_fma_f32 v31, v46, v6, -v30
	v_mul_f32_e32 v30, v46, v7
	v_mul_f32_e32 v32, v49, v1
	v_add_f32_e32 v25, v25, v38
	v_add_f32_e32 v24, v24, v35
	v_fmac_f32_e32 v30, v47, v6
	v_fma_f32 v33, v48, v0, -v32
	v_mul_f32_e32 v32, v48, v1
	v_add_f32_e32 v25, v25, v34
	v_add_f32_e32 v24, v24, v31
	v_fmac_f32_e32 v32, v49, v0
	v_mul_f32_e32 v40, v53, v21
	v_add_f32_e32 v25, v25, v30
	v_add_f32_e32 v24, v24, v33
	v_fma_f32 v41, v52, v20, -v40
	v_mul_f32_e32 v40, v52, v21
	v_mul_f32_e32 v46, v55, v23
	v_add_f32_e32 v25, v25, v32
	v_add_f32_e32 v24, v24, v37
	v_fmac_f32_e32 v40, v53, v20
	v_fma_f32 v46, v54, v22, -v46
	v_mul_f32_e32 v47, v54, v23
	v_mul_f32_e32 v48, v57, v17
	v_add_f32_e32 v25, v25, v36
	v_add_f32_e32 v24, v24, v41
	v_fmac_f32_e32 v47, v55, v22
	v_fma_f32 v48, v56, v16, -v48
	v_mul_f32_e32 v49, v56, v17
	v_add_f32_e32 v25, v25, v40
	v_add_f32_e32 v24, v24, v46
	v_fmac_f32_e32 v49, v57, v16
	v_add_f32_e32 v25, v25, v47
	v_add_f32_e32 v24, v24, v48
	;; [unrolled: 1-line block ×6, first 2 shown]
	v_sub_f32_e32 v50, v58, v50
	v_sub_f32_e32 v44, v44, v51
	v_add_f32_e32 v25, v25, v51
	v_mul_f32_e32 v51, 0xbeedf032, v44
	v_mul_f32_e32 v55, 0xbeedf032, v50
	;; [unrolled: 1-line block ×12, first 2 shown]
	v_fma_f32 v54, v52, s2, -v51
	v_mov_b32_e32 v56, v55
	v_fmac_f32_e32 v51, 0x3f62ad3f, v52
	v_fma_f32 v58, v52, s1, -v57
	v_mov_b32_e32 v63, v62
	v_fmac_f32_e32 v57, 0x3f116cb1, v52
	;; [unrolled: 3-line block ×6, first 2 shown]
	v_add_f32_e32 v54, v42, v54
	v_fmac_f32_e32 v56, 0x3f62ad3f, v53
	v_add_f32_e32 v51, v42, v51
	v_fma_f32 v55, v53, s2, -v55
	v_add_f32_e32 v58, v42, v58
	v_fmac_f32_e32 v63, 0x3f116cb1, v53
	v_add_f32_e32 v57, v42, v57
	v_fma_f32 v62, v53, s1, -v62
	;; [unrolled: 4-line block ×6, first 2 shown]
	v_add_f32_e32 v56, v43, v56
	v_add_f32_e32 v55, v43, v55
	;; [unrolled: 1-line block ×13, first 2 shown]
	v_sub_f32_e32 v45, v45, v48
	v_sub_f32_e32 v48, v59, v49
	v_add_f32_e32 v50, v59, v49
	v_mul_f32_e32 v49, 0xbf52af12, v48
	v_fma_f32 v52, v44, s1, -v49
	v_mul_f32_e32 v53, 0xbf52af12, v45
	v_add_f32_e32 v52, v52, v54
	v_mov_b32_e32 v54, v53
	v_fmac_f32_e32 v49, 0x3f116cb1, v44
	v_fmac_f32_e32 v54, 0x3f116cb1, v50
	v_add_f32_e32 v49, v49, v51
	v_fma_f32 v51, v50, s1, -v53
	v_mul_f32_e32 v53, 0xbf6f5d39, v48
	v_add_f32_e32 v54, v54, v56
	v_add_f32_e32 v51, v51, v55
	v_fma_f32 v55, v44, s3, -v53
	v_mul_f32_e32 v56, 0xbf6f5d39, v45
	v_fmac_f32_e32 v53, 0xbeb58ec6, v44
	v_add_f32_e32 v55, v55, v58
	v_mov_b32_e32 v58, v56
	v_add_f32_e32 v53, v53, v57
	v_fma_f32 v56, v50, s3, -v56
	v_mul_f32_e32 v57, 0xbe750f2a, v48
	v_fmac_f32_e32 v58, 0xbeb58ec6, v50
	v_add_f32_e32 v56, v56, v62
	v_fma_f32 v59, v44, s7, -v57
	v_mul_f32_e32 v62, 0xbe750f2a, v45
	v_fmac_f32_e32 v57, 0xbf788fa5, v44
	v_add_f32_e32 v58, v58, v63
	v_mov_b32_e32 v63, v62
	v_add_f32_e32 v57, v57, v91
	v_fma_f32 v62, v50, s7, -v62
	v_mul_f32_e32 v91, 0x3f29c268, v48
	v_add_f32_e32 v59, v59, v92
	v_fmac_f32_e32 v63, 0xbf788fa5, v50
	v_add_f32_e32 v62, v62, v93
	v_fma_f32 v92, v44, s6, -v91
	v_mul_f32_e32 v93, 0x3f29c268, v45
	v_fmac_f32_e32 v91, 0xbf3f9e67, v44
	v_add_f32_e32 v63, v63, v94
	v_mov_b32_e32 v94, v93
	v_add_f32_e32 v91, v91, v100
	v_fma_f32 v93, v50, s6, -v93
	v_mul_f32_e32 v100, 0x3f7e222b, v48
	v_add_f32_e32 v92, v92, v101
	v_add_f32_e32 v93, v93, v102
	v_fma_f32 v101, v44, s0, -v100
	v_mul_f32_e32 v102, 0x3f7e222b, v45
	v_fmac_f32_e32 v100, 0x3df6dbef, v44
	v_mul_f32_e32 v48, 0x3eedf032, v48
	v_mul_f32_e32 v45, 0x3eedf032, v45
	v_fmac_f32_e32 v94, 0xbf3f9e67, v50
	v_add_f32_e32 v101, v101, v105
	v_add_f32_e32 v100, v100, v104
	v_fma_f32 v104, v44, s2, -v48
	v_mov_b32_e32 v105, v45
	v_fmac_f32_e32 v48, 0x3f62ad3f, v44
	v_fma_f32 v44, v50, s2, -v45
	v_add_f32_e32 v45, v61, v47
	v_sub_f32_e32 v47, v61, v47
	v_add_f32_e32 v94, v94, v103
	v_mov_b32_e32 v103, v102
	v_add_f32_e32 v42, v48, v42
	v_add_f32_e32 v43, v44, v43
	;; [unrolled: 1-line block ×3, first 2 shown]
	v_mul_f32_e32 v48, 0xbf7e222b, v47
	v_fmac_f32_e32 v103, 0x3df6dbef, v50
	v_fma_f32 v102, v50, s0, -v102
	v_fmac_f32_e32 v105, 0x3f62ad3f, v50
	v_sub_f32_e32 v46, v60, v46
	v_fma_f32 v50, v44, s0, -v48
	v_add_f32_e32 v50, v50, v52
	v_mul_f32_e32 v52, 0xbf7e222b, v46
	v_fmac_f32_e32 v48, 0x3df6dbef, v44
	v_add_f32_e32 v48, v48, v49
	v_fma_f32 v49, v45, s0, -v52
	v_add_f32_e32 v49, v49, v51
	v_mul_f32_e32 v51, 0xbe750f2a, v47
	v_mov_b32_e32 v60, v52
	v_fma_f32 v52, v44, s7, -v51
	v_fmac_f32_e32 v60, 0x3df6dbef, v45
	v_add_f32_e32 v52, v52, v55
	v_mul_f32_e32 v55, 0xbe750f2a, v46
	v_fmac_f32_e32 v51, 0xbf788fa5, v44
	v_add_f32_e32 v54, v60, v54
	v_mov_b32_e32 v60, v55
	v_add_f32_e32 v51, v51, v53
	v_fma_f32 v53, v45, s7, -v55
	v_mul_f32_e32 v55, 0x3f6f5d39, v47
	v_add_f32_e32 v53, v53, v56
	v_fma_f32 v56, v44, s3, -v55
	v_fmac_f32_e32 v60, 0xbf788fa5, v45
	v_add_f32_e32 v56, v56, v59
	v_mul_f32_e32 v59, 0x3f6f5d39, v46
	v_fmac_f32_e32 v55, 0xbeb58ec6, v44
	v_add_f32_e32 v58, v60, v58
	v_mov_b32_e32 v60, v59
	v_add_f32_e32 v55, v55, v57
	v_fma_f32 v57, v45, s3, -v59
	v_mul_f32_e32 v59, 0x3eedf032, v47
	v_fmac_f32_e32 v60, 0xbeb58ec6, v45
	v_add_f32_e32 v57, v57, v62
	v_fma_f32 v61, v44, s2, -v59
	v_mul_f32_e32 v62, 0x3eedf032, v46
	v_fmac_f32_e32 v59, 0x3f62ad3f, v44
	v_add_f32_e32 v60, v60, v63
	v_mov_b32_e32 v63, v62
	v_add_f32_e32 v59, v59, v91
	v_fma_f32 v62, v45, s2, -v62
	v_mul_f32_e32 v91, 0xbf52af12, v47
	v_add_f32_e32 v61, v61, v92
	v_fmac_f32_e32 v63, 0x3f62ad3f, v45
	v_add_f32_e32 v62, v62, v93
	v_fma_f32 v92, v44, s1, -v91
	v_mul_f32_e32 v93, 0xbf52af12, v46
	v_mul_f32_e32 v46, 0xbf29c268, v46
	v_add_f32_e32 v63, v63, v94
	v_add_f32_e32 v92, v92, v101
	v_mov_b32_e32 v94, v93
	v_fmac_f32_e32 v91, 0x3f116cb1, v44
	v_mul_f32_e32 v47, 0xbf29c268, v47
	v_mov_b32_e32 v101, v46
	v_fmac_f32_e32 v94, 0x3f116cb1, v45
	v_add_f32_e32 v91, v91, v100
	v_fma_f32 v93, v45, s1, -v93
	v_fma_f32 v100, v44, s6, -v47
	v_fmac_f32_e32 v101, 0xbf3f9e67, v45
	v_fmac_f32_e32 v47, 0xbf3f9e67, v44
	v_fma_f32 v44, v45, s6, -v46
	v_add_f32_e32 v45, v38, v40
	v_sub_f32_e32 v38, v38, v40
	v_add_f32_e32 v43, v44, v43
	v_add_f32_e32 v44, v39, v41
	v_sub_f32_e32 v39, v39, v41
	v_mul_f32_e32 v40, 0xbf6f5d39, v38
	v_fma_f32 v41, v44, s3, -v40
	v_mul_f32_e32 v46, 0xbf6f5d39, v39
	v_fmac_f32_e32 v40, 0xbeb58ec6, v44
	v_add_f32_e32 v42, v47, v42
	v_mov_b32_e32 v47, v46
	v_add_f32_e32 v40, v40, v48
	v_fma_f32 v46, v45, s3, -v46
	v_mul_f32_e32 v48, 0x3f29c268, v38
	v_add_f32_e32 v41, v41, v50
	v_add_f32_e32 v46, v46, v49
	v_fma_f32 v49, v44, s6, -v48
	v_mul_f32_e32 v50, 0x3f29c268, v39
	v_fmac_f32_e32 v48, 0xbf3f9e67, v44
	v_fmac_f32_e32 v47, 0xbeb58ec6, v45
	v_add_f32_e32 v49, v49, v52
	v_mov_b32_e32 v52, v50
	v_add_f32_e32 v48, v48, v51
	v_fma_f32 v50, v45, s6, -v50
	v_mul_f32_e32 v51, 0x3eedf032, v38
	v_add_f32_e32 v47, v47, v54
	v_add_f32_e32 v50, v50, v53
	v_fma_f32 v53, v44, s2, -v51
	v_mul_f32_e32 v54, 0x3eedf032, v39
	v_fmac_f32_e32 v51, 0x3f62ad3f, v44
	v_fmac_f32_e32 v52, 0xbf3f9e67, v45
	v_add_f32_e32 v53, v53, v56
	v_mov_b32_e32 v56, v54
	v_add_f32_e32 v51, v51, v55
	v_fma_f32 v54, v45, s2, -v54
	v_mul_f32_e32 v55, 0xbf7e222b, v38
	v_add_f32_e32 v52, v52, v58
	v_fmac_f32_e32 v56, 0x3f62ad3f, v45
	v_add_f32_e32 v54, v54, v57
	v_fma_f32 v57, v44, s0, -v55
	v_mul_f32_e32 v58, 0xbf7e222b, v39
	v_fmac_f32_e32 v55, 0x3df6dbef, v44
	v_add_f32_e32 v56, v56, v60
	v_mov_b32_e32 v60, v58
	v_add_f32_e32 v55, v55, v59
	v_fma_f32 v58, v45, s0, -v58
	v_mul_f32_e32 v59, 0x3e750f2a, v38
	v_add_f32_e32 v57, v57, v61
	v_add_f32_e32 v58, v58, v62
	v_fma_f32 v61, v44, s7, -v59
	v_mul_f32_e32 v62, 0x3e750f2a, v39
	v_mul_f32_e32 v39, 0x3f52af12, v39
	v_add_f32_e32 v61, v61, v92
	v_fmac_f32_e32 v59, 0xbf788fa5, v44
	v_mul_f32_e32 v38, 0x3f52af12, v38
	v_mov_b32_e32 v92, v39
	v_fma_f32 v39, v45, s1, -v39
	v_add_f32_e32 v59, v59, v91
	v_fma_f32 v91, v44, s1, -v38
	v_fmac_f32_e32 v38, 0x3f116cb1, v44
	v_add_f32_e32 v39, v39, v43
	v_add_f32_e32 v43, v34, v36
	v_sub_f32_e32 v34, v34, v36
	v_add_f32_e32 v38, v38, v42
	v_add_f32_e32 v42, v35, v37
	v_mul_f32_e32 v36, 0xbf29c268, v34
	v_sub_f32_e32 v35, v35, v37
	v_fma_f32 v37, v42, s6, -v36
	v_add_f32_e32 v37, v37, v41
	v_mul_f32_e32 v41, 0xbf29c268, v35
	v_fmac_f32_e32 v36, 0xbf3f9e67, v42
	v_fmac_f32_e32 v60, 0x3df6dbef, v45
	v_add_f32_e32 v36, v36, v40
	v_fma_f32 v40, v43, s6, -v41
	v_add_f32_e32 v60, v60, v63
	v_mov_b32_e32 v63, v62
	v_mov_b32_e32 v44, v41
	v_add_f32_e32 v41, v40, v46
	v_mul_f32_e32 v40, 0x3f7e222b, v34
	v_fmac_f32_e32 v63, 0xbf788fa5, v45
	v_fma_f32 v62, v45, s7, -v62
	v_fmac_f32_e32 v92, 0x3f116cb1, v45
	v_fma_f32 v45, v42, s0, -v40
	v_mul_f32_e32 v46, 0x3f7e222b, v35
	v_fmac_f32_e32 v40, 0x3df6dbef, v42
	v_fmac_f32_e32 v44, 0xbf3f9e67, v43
	v_add_f32_e32 v48, v40, v48
	v_fma_f32 v40, v43, s0, -v46
	v_add_f32_e32 v44, v44, v47
	v_mov_b32_e32 v47, v46
	v_add_f32_e32 v46, v40, v50
	v_mul_f32_e32 v40, 0xbf52af12, v34
	v_add_f32_e32 v45, v45, v49
	v_fma_f32 v49, v42, s1, -v40
	v_mul_f32_e32 v50, 0xbf52af12, v35
	v_fmac_f32_e32 v40, 0x3f116cb1, v42
	v_fmac_f32_e32 v47, 0x3df6dbef, v43
	v_add_f32_e32 v51, v40, v51
	v_fma_f32 v40, v43, s1, -v50
	v_add_f32_e32 v47, v47, v52
	v_mov_b32_e32 v52, v50
	v_add_f32_e32 v50, v40, v54
	v_mul_f32_e32 v40, 0x3e750f2a, v34
	v_add_f32_e32 v49, v49, v53
	v_fma_f32 v53, v42, s7, -v40
	v_mul_f32_e32 v54, 0x3e750f2a, v35
	v_fmac_f32_e32 v40, 0xbf788fa5, v42
	v_fmac_f32_e32 v52, 0x3f116cb1, v43
	v_add_f32_e32 v55, v40, v55
	v_fma_f32 v40, v43, s7, -v54
	v_add_f32_e32 v102, v102, v106
	v_add_f32_e32 v52, v52, v56
	v_mov_b32_e32 v56, v54
	v_add_f32_e32 v54, v40, v58
	v_mul_f32_e32 v40, 0x3eedf032, v34
	v_add_f32_e32 v104, v104, v108
	v_add_f32_e32 v93, v93, v102
	;; [unrolled: 1-line block ×3, first 2 shown]
	v_fma_f32 v57, v42, s2, -v40
	v_mul_f32_e32 v58, 0x3eedf032, v35
	v_fmac_f32_e32 v40, 0x3f62ad3f, v42
	v_add_f32_e32 v100, v100, v104
	v_add_f32_e32 v62, v62, v93
	v_fmac_f32_e32 v56, 0xbf788fa5, v43
	v_add_f32_e32 v59, v40, v59
	v_fma_f32 v40, v43, s2, -v58
	v_mul_f32_e32 v34, 0xbf6f5d39, v34
	v_add_f32_e32 v103, v103, v107
	v_add_f32_e32 v105, v105, v109
	v_add_f32_e32 v91, v91, v100
	v_add_f32_e32 v56, v56, v60
	v_mov_b32_e32 v60, v58
	v_add_f32_e32 v58, v40, v62
	v_fma_f32 v40, v42, s3, -v34
	v_mul_f32_e32 v35, 0xbf6f5d39, v35
	v_add_f32_e32 v94, v94, v103
	v_add_f32_e32 v101, v101, v105
	;; [unrolled: 1-line block ×4, first 2 shown]
	v_mov_b32_e32 v40, v35
	v_add_f32_e32 v63, v63, v94
	v_add_f32_e32 v92, v92, v101
	v_fmac_f32_e32 v40, 0xbeb58ec6, v43
	v_sub_f32_e32 v94, v31, v33
	v_add_f32_e32 v62, v40, v92
	v_add_f32_e32 v92, v31, v33
	v_mul_f32_e32 v33, 0xbe750f2a, v94
	v_fmac_f32_e32 v60, 0x3f62ad3f, v43
	v_fmac_f32_e32 v34, 0xbeb58ec6, v42
	v_add_f32_e32 v93, v30, v32
	v_sub_f32_e32 v100, v30, v32
	v_mov_b32_e32 v31, v33
	v_add_f32_e32 v60, v60, v63
	v_add_f32_e32 v63, v34, v38
	v_fma_f32 v34, v43, s3, -v35
	v_mul_f32_e32 v32, 0xbe750f2a, v100
	v_fmac_f32_e32 v31, 0xbf788fa5, v93
	v_add_f32_e32 v91, v34, v39
	v_fma_f32 v30, v92, s7, -v32
	v_add_f32_e32 v31, v31, v44
	v_fmac_f32_e32 v32, 0xbf788fa5, v92
	v_mul_f32_e32 v35, 0x3eedf032, v94
	v_mul_f32_e32 v38, 0xbf29c268, v100
	;; [unrolled: 1-line block ×4, first 2 shown]
	v_add_f32_e32 v30, v30, v37
	v_add_f32_e32 v40, v32, v36
	v_fma_f32 v32, v93, s7, -v33
	v_mul_f32_e32 v34, 0x3eedf032, v100
	v_mov_b32_e32 v33, v35
	v_fma_f32 v36, v92, s6, -v38
	v_mov_b32_e32 v37, v39
	v_fma_f32 v42, v92, s1, -v44
	v_add_f32_e32 v41, v32, v41
	v_fma_f32 v32, v92, s2, -v34
	v_fmac_f32_e32 v33, 0x3f62ad3f, v93
	v_fmac_f32_e32 v34, 0x3f62ad3f, v92
	v_add_f32_e32 v36, v36, v49
	v_fmac_f32_e32 v37, 0xbf3f9e67, v93
	v_fmac_f32_e32 v38, 0xbf3f9e67, v92
	v_add_f32_e32 v42, v42, v53
	v_mul_f32_e32 v49, 0xbf6f5d39, v94
	v_mul_f32_e32 v53, 0x3f7e222b, v94
	v_add_f32_e32 v32, v32, v45
	v_add_f32_e32 v33, v33, v47
	;; [unrolled: 1-line block ×3, first 2 shown]
	v_fma_f32 v35, v93, s2, -v35
	v_add_f32_e32 v37, v37, v52
	v_add_f32_e32 v38, v38, v51
	v_fma_f32 v39, v93, s6, -v39
	v_mul_f32_e32 v45, 0x3f52af12, v94
	v_mul_f32_e32 v48, 0xbf6f5d39, v100
	v_mov_b32_e32 v47, v49
	v_mul_f32_e32 v52, 0x3f7e222b, v100
	v_mov_b32_e32 v51, v53
	v_add_f32_e32 v35, v35, v46
	v_add_f32_e32 v39, v39, v50
	v_mov_b32_e32 v43, v45
	v_fmac_f32_e32 v44, 0x3f116cb1, v92
	v_fma_f32 v45, v93, s1, -v45
	v_fma_f32 v46, v92, s3, -v48
	v_fmac_f32_e32 v47, 0xbeb58ec6, v93
	v_fmac_f32_e32 v48, 0xbeb58ec6, v92
	v_fma_f32 v49, v93, s3, -v49
	v_fma_f32 v50, v92, s0, -v52
	v_fmac_f32_e32 v51, 0x3df6dbef, v93
	v_fmac_f32_e32 v43, 0x3f116cb1, v93
	v_add_f32_e32 v44, v44, v55
	v_add_f32_e32 v45, v45, v54
	;; [unrolled: 1-line block ×8, first 2 shown]
	v_fmac_f32_e32 v52, 0x3df6dbef, v92
	v_fma_f32 v53, v93, s0, -v53
	v_add_lshl_u32 v100, v28, v29, 3
	v_add_f32_e32 v43, v43, v56
	v_add_f32_e32 v52, v52, v63
	;; [unrolled: 1-line block ×3, first 2 shown]
	ds_write2_b64 v100, v[24:25], v[30:31] offset1:13
	ds_write2_b64 v100, v[32:33], v[36:37] offset0:26 offset1:39
	ds_write2_b64 v100, v[42:43], v[46:47] offset0:52 offset1:65
	ds_write2_b64 v100, v[50:51], v[52:53] offset0:78 offset1:91
	ds_write2_b64 v100, v[48:49], v[44:45] offset0:104 offset1:117
	ds_write2_b64 v100, v[38:39], v[34:35] offset0:130 offset1:143
	ds_write_b64 v100, v[40:41] offset:1248
	s_waitcnt lgkmcnt(0)
	; wave barrier
	s_waitcnt lgkmcnt(0)
	ds_read2_b64 v[48:51], v95 offset1:52
	ds_read2_b64 v[44:47], v95 offset0:104 offset1:169
	ds_read2_b64 v[32:35], v26 offset0:82 offset1:134
	;; [unrolled: 1-line block ×5, first 2 shown]
	v_cmp_gt_u16_e64 s[0:1], 13, v96
                                        ; implicit-def: $vgpr54
	s_and_saveexec_b64 s[2:3], s[0:1]
	s_cbranch_execz .LBB0_3
; %bb.2:
	v_add_u32_e32 v28, 0xe00, v95
	ds_read2_b64 v[40:43], v99 offset0:28 offset1:197
	ds_read2_b64 v[52:55], v28 offset0:46 offset1:215
.LBB0_3:
	s_or_b64 exec, exec, s[2:3]
	v_mad_u64_u32 v[101:102], s[2:3], v96, 24, s[14:15]
	v_add_u32_e32 v103, 0x9c, v96
	global_load_dwordx2 v[91:92], v[101:102], off offset:1264
	global_load_dwordx4 v[28:31], v[101:102], off offset:1248
	s_waitcnt vmcnt(1) lgkmcnt(2)
	v_mul_f32_e32 v109, v58, v92
	s_waitcnt vmcnt(0)
	v_mul_f32_e32 v36, v47, v29
	v_fma_f32 v104, v46, v28, -v36
	v_mul_f32_e32 v36, v33, v31
	v_fma_f32 v106, v32, v30, -v36
	global_load_dwordx2 v[93:94], v[101:102], off offset:2512
	global_load_dwordx4 v[36:39], v[101:102], off offset:2496
	v_mul_f32_e32 v107, v32, v31
	v_mul_f32_e32 v32, v59, v92
	v_fma_f32 v108, v58, v91, -v32
	v_fmac_f32_e32 v107, v33, v30
	v_fmac_f32_e32 v109, v59, v91
	v_mul_f32_e32 v105, v46, v29
	v_fmac_f32_e32 v105, v47, v28
	s_waitcnt vmcnt(1) lgkmcnt(0)
	v_mul_f32_e32 v115, v24, v94
	s_waitcnt vmcnt(0)
	v_mul_f32_e32 v32, v61, v37
	v_fma_f32 v110, v60, v36, -v32
	v_mul_f32_e32 v32, v35, v39
	v_fma_f32 v112, v34, v38, -v32
	v_mul_f32_e32 v113, v34, v39
	v_mul_f32_e32 v32, v25, v94
	v_fmac_f32_e32 v113, v35, v38
	v_fma_f32 v114, v24, v93, -v32
	global_load_dwordx2 v[58:59], v[101:102], off offset:3760
	global_load_dwordx4 v[32:35], v[101:102], off offset:3744
	v_fmac_f32_e32 v115, v25, v93
	v_mul_f32_e32 v111, v60, v37
	v_fmac_f32_e32 v111, v61, v36
	v_sub_f32_e32 v60, v48, v106
	v_sub_f32_e32 v102, v110, v114
	;; [unrolled: 1-line block ×4, first 2 shown]
	s_waitcnt vmcnt(1)
	v_mul_f32_e32 v121, v26, v59
	s_waitcnt vmcnt(0)
	v_mul_f32_e32 v24, v63, v33
	v_fma_f32 v116, v62, v32, -v24
	v_mul_f32_e32 v24, v57, v35
	v_fma_f32 v118, v56, v34, -v24
	;; [unrolled: 2-line block ×3, first 2 shown]
	v_add_u32_e32 v24, -13, v96
	v_cndmask_b32_e64 v24, v24, v103, s[0:1]
	v_mul_hi_i32_i24_e32 v25, 24, v24
	v_mul_i32_i24_e32 v24, 24, v24
	v_add_co_u32_e64 v46, s[2:3], s14, v24
	v_mov_b32_e32 v24, s15
	v_mul_f32_e32 v119, v56, v35
	v_addc_co_u32_e64 v47, s[2:3], v24, v25, s[2:3]
	v_fmac_f32_e32 v119, v57, v34
	v_fmac_f32_e32 v121, v27, v58
	global_load_dwordx2 v[56:57], v[46:47], off offset:1264
	global_load_dwordx4 v[24:27], v[46:47], off offset:1248
	v_mul_f32_e32 v117, v62, v33
	v_sub_f32_e32 v103, v50, v112
	v_fmac_f32_e32 v117, v63, v32
	v_fma_f32 v62, v50, 2.0, -v103
	v_fma_f32 v50, v110, 2.0, -v102
	v_sub_f32_e32 v110, v116, v120
	v_sub_f32_e32 v112, v45, v119
	v_fma_f32 v45, v45, 2.0, -v112
	v_sub_f32_e32 v50, v62, v50
	v_fma_f32 v62, v62, 2.0, -v50
	s_waitcnt vmcnt(1)
	v_mul_f32_e32 v123, v54, v57
	s_waitcnt vmcnt(0)
	v_mul_f32_e32 v46, v43, v25
	v_fma_f32 v46, v42, v24, -v46
	v_mul_f32_e32 v42, v42, v25
	v_fmac_f32_e32 v42, v43, v24
	v_mul_f32_e32 v43, v53, v27
	v_fma_f32 v43, v52, v26, -v43
	v_mul_f32_e32 v47, v52, v27
	v_mul_f32_e32 v52, v55, v57
	v_fmac_f32_e32 v123, v55, v56
	v_sub_f32_e32 v55, v104, v108
	v_fma_f32 v122, v54, v56, -v52
	v_fma_f32 v52, v48, 2.0, -v60
	v_fma_f32 v48, v104, 2.0, -v55
	v_sub_f32_e32 v104, v51, v113
	v_sub_f32_e32 v54, v105, v109
	v_fma_f32 v63, v51, 2.0, -v104
	v_fma_f32 v51, v111, 2.0, -v101
	v_sub_f32_e32 v111, v44, v118
	v_fmac_f32_e32 v47, v53, v26
	v_fma_f32 v53, v49, 2.0, -v61
	v_fma_f32 v49, v105, 2.0, -v54
	;; [unrolled: 1-line block ×3, first 2 shown]
	v_sub_f32_e32 v109, v117, v121
	v_fma_f32 v105, v116, 2.0, -v110
	v_fma_f32 v106, v117, 2.0, -v109
	v_sub_f32_e32 v105, v44, v105
	v_sub_f32_e32 v43, v40, v43
	;; [unrolled: 1-line block ×6, first 2 shown]
	v_add_f32_e32 v55, v61, v55
	v_sub_f32_e32 v106, v45, v106
	v_fma_f32 v107, v44, 2.0, -v105
	v_fma_f32 v40, v40, 2.0, -v43
	;; [unrolled: 1-line block ×5, first 2 shown]
	v_sub_f32_e32 v46, v43, v114
	v_add_f32_e32 v47, v113, v47
	v_sub_f32_e32 v48, v52, v48
	v_sub_f32_e32 v49, v53, v49
	v_fma_f32 v60, v60, 2.0, -v54
	v_fma_f32 v61, v61, 2.0, -v55
	v_sub_f32_e32 v51, v63, v51
	v_sub_f32_e32 v101, v103, v101
	v_add_f32_e32 v102, v104, v102
	v_fma_f32 v108, v45, 2.0, -v106
	v_sub_f32_e32 v109, v111, v109
	v_add_f32_e32 v110, v112, v110
	v_sub_f32_e32 v44, v40, v44
	v_sub_f32_e32 v45, v41, v42
	v_fma_f32 v42, v43, 2.0, -v46
	v_fma_f32 v43, v113, 2.0, -v47
	;; [unrolled: 1-line block ×9, first 2 shown]
	ds_write_b64 v95, v[60:61] offset:1352
	ds_write_b64 v95, v[48:49] offset:2704
	;; [unrolled: 1-line block ×3, first 2 shown]
	ds_write2_b64 v95, v[52:53], v[62:63] offset1:52
	ds_write_b64 v95, v[50:51] offset:3120
	ds_write_b64 v95, v[101:102] offset:4472
	;; [unrolled: 1-line block ×3, first 2 shown]
	ds_write2_b64 v99, v[103:104], v[111:112] offset0:93 offset1:145
	ds_write_b64 v95, v[105:106] offset:3536
	ds_write_b64 v95, v[109:110] offset:4888
	s_and_saveexec_b64 s[2:3], s[0:1]
	s_cbranch_execz .LBB0_5
; %bb.4:
	v_fma_f32 v41, v41, 2.0, -v45
	v_fma_f32 v40, v40, 2.0, -v44
	v_add_u32_e32 v48, 0x400, v95
	ds_write2_b64 v48, v[40:41], v[42:43] offset0:28 offset1:197
	v_add_u32_e32 v40, 0xe00, v95
	ds_write2_b64 v40, v[44:45], v[46:47] offset0:46 offset1:215
.LBB0_5:
	s_or_b64 exec, exec, s[2:3]
	v_mov_b32_e32 v40, s13
	v_addc_co_u32_e32 v50, vcc, 0, v40, vcc
	v_add_co_u32_e32 v40, vcc, 0x1520, v97
	s_mov_b64 s[2:3], vcc
	v_addc_co_u32_e64 v41, s[2:3], 0, v50, s[2:3]
	s_waitcnt lgkmcnt(0)
	; wave barrier
	s_waitcnt lgkmcnt(0)
	global_load_dwordx2 v[60:61], v[40:41], off offset:416
	v_add_co_u32_e32 v48, vcc, 0x1000, v97
	v_addc_co_u32_e32 v49, vcc, 0, v50, vcc
	global_load_dwordx2 v[62:63], v[48:49], off offset:1312
	global_load_dwordx2 v[113:114], v[40:41], off offset:832
	;; [unrolled: 1-line block ×5, first 2 shown]
	s_movk_i32 s2, 0x2000
	v_add_co_u32_e32 v48, vcc, s2, v97
	global_load_dwordx2 v[121:122], v[40:41], off offset:2496
	global_load_dwordx2 v[123:124], v[40:41], off offset:2912
	global_load_dwordx2 v[125:126], v[40:41], off offset:3328
	global_load_dwordx2 v[127:128], v[40:41], off offset:3744
	v_addc_co_u32_e32 v49, vcc, 0, v50, vcc
	global_load_dwordx2 v[40:41], v[48:49], off offset:1376
	global_load_dwordx2 v[129:130], v[48:49], off offset:1792
	;; [unrolled: 1-line block ×3, first 2 shown]
	ds_read2_b64 v[51:54], v95 offset1:52
	v_add_u32_e32 v48, 0x400, v95
	v_add_u32_e32 v50, 0x800, v95
	;; [unrolled: 1-line block ×3, first 2 shown]
	s_mov_b32 s6, 0x3f62ad3f
	s_mov_b32 s3, 0x3f116cb1
	s_mov_b32 s2, 0x3df6dbef
	s_mov_b32 s7, 0xbeb58ec6
	s_mov_b32 s12, 0xbf3f9e67
	s_mov_b32 s13, 0xbf788fa5
	s_waitcnt vmcnt(12) lgkmcnt(0)
	v_mul_f32_e32 v97, v54, v61
	v_mul_f32_e32 v102, v53, v61
	s_waitcnt vmcnt(11)
	v_mul_f32_e32 v61, v52, v63
	v_mul_f32_e32 v55, v51, v63
	v_fma_f32 v101, v53, v60, -v97
	v_fmac_f32_e32 v102, v54, v60
	v_fma_f32 v54, v51, v62, -v61
	v_fmac_f32_e32 v55, v52, v62
	ds_write2_b64 v95, v[54:55], v[101:102] offset1:52
	ds_read2_b64 v[51:54], v95 offset0:104 offset1:156
	ds_read2_b64 v[60:63], v48 offset0:80 offset1:132
	;; [unrolled: 1-line block ×5, first 2 shown]
	ds_read_b64 v[133:134], v95 offset:4992
	s_waitcnt vmcnt(10) lgkmcnt(5)
	v_mul_f32_e32 v97, v52, v114
	v_mul_f32_e32 v136, v51, v114
	s_waitcnt vmcnt(9)
	v_mul_f32_e32 v99, v54, v116
	v_mul_f32_e32 v114, v53, v116
	s_waitcnt vmcnt(8) lgkmcnt(4)
	v_mul_f32_e32 v137, v61, v118
	v_mul_f32_e32 v55, v60, v118
	s_waitcnt vmcnt(7)
	v_mul_f32_e32 v138, v63, v120
	v_mul_f32_e32 v116, v62, v120
	;; [unrolled: 6-line block ×5, first 2 shown]
	v_fma_f32 v135, v51, v113, -v97
	v_fmac_f32_e32 v136, v52, v113
	v_fma_f32 v113, v53, v115, -v99
	v_fmac_f32_e32 v114, v54, v115
	;; [unrolled: 2-line block ×10, first 2 shown]
	ds_write2_b64 v95, v[135:136], v[113:114] offset0:104 offset1:156
	ds_write2_b64 v48, v[54:55], v[115:116] offset0:80 offset1:132
	;; [unrolled: 1-line block ×5, first 2 shown]
	s_waitcnt vmcnt(0) lgkmcnt(5)
	v_mul_f32_e32 v40, v134, v132
	v_mul_f32_e32 v41, v133, v132
	v_fma_f32 v40, v133, v131, -v40
	v_fmac_f32_e32 v41, v134, v131
	ds_write_b64 v95, v[40:41] offset:4992
	s_waitcnt lgkmcnt(0)
	; wave barrier
	s_waitcnt lgkmcnt(0)
	ds_read2_b64 v[51:54], v95 offset1:52
	ds_read2_b64 v[60:63], v95 offset0:104 offset1:156
	ds_read2_b64 v[101:104], v48 offset0:80 offset1:132
	;; [unrolled: 1-line block ×5, first 2 shown]
	ds_read_b64 v[40:41], v95 offset:4992
	s_waitcnt lgkmcnt(6)
	v_add_f32_e32 v97, v52, v54
	v_add_f32_e32 v55, v51, v53
	s_waitcnt lgkmcnt(5)
	v_add_f32_e32 v97, v97, v61
	v_add_f32_e32 v55, v55, v60
	v_add_f32_e32 v97, v97, v63
	v_add_f32_e32 v55, v55, v62
	s_waitcnt lgkmcnt(4)
	v_add_f32_e32 v97, v97, v102
	v_add_f32_e32 v55, v55, v101
	;; [unrolled: 5-line block ×6, first 2 shown]
	v_sub_f32_e32 v41, v54, v41
	v_add_f32_e32 v117, v55, v40
	v_add_f32_e32 v55, v40, v53
	v_sub_f32_e32 v40, v53, v40
	v_mul_f32_e32 v53, 0xbeedf032, v41
	v_mul_f32_e32 v120, 0xbf52af12, v41
	;; [unrolled: 1-line block ×6, first 2 shown]
	v_mov_b32_e32 v54, v53
	v_mul_f32_e32 v99, 0x3f62ad3f, v97
	v_mov_b32_e32 v121, v120
	v_mul_f32_e32 v122, 0x3f116cb1, v97
	;; [unrolled: 2-line block ×6, first 2 shown]
	v_fmac_f32_e32 v54, 0x3f62ad3f, v55
	v_mov_b32_e32 v119, v99
	v_fma_f32 v53, v55, s6, -v53
	v_fmac_f32_e32 v121, 0x3f116cb1, v55
	v_mov_b32_e32 v123, v122
	v_fma_f32 v120, v55, s3, -v120
	;; [unrolled: 3-line block ×6, first 2 shown]
	v_add_f32_e32 v54, v51, v54
	v_fmac_f32_e32 v119, 0x3eedf032, v40
	v_add_f32_e32 v53, v51, v53
	v_fmac_f32_e32 v99, 0xbeedf032, v40
	;; [unrolled: 2-line block ×12, first 2 shown]
	v_add_f32_e32 v51, v115, v60
	v_sub_f32_e32 v55, v60, v115
	v_sub_f32_e32 v60, v61, v116
	v_add_f32_e32 v119, v52, v119
	v_add_f32_e32 v99, v52, v99
	;; [unrolled: 1-line block ×13, first 2 shown]
	v_mul_f32_e32 v61, 0xbf52af12, v60
	v_mov_b32_e32 v97, v61
	v_fmac_f32_e32 v97, 0x3f116cb1, v51
	v_add_f32_e32 v54, v97, v54
	v_mul_f32_e32 v97, 0x3f116cb1, v52
	v_mov_b32_e32 v115, v97
	v_fma_f32 v61, v51, s3, -v61
	v_fmac_f32_e32 v97, 0xbf52af12, v55
	v_add_f32_e32 v53, v61, v53
	v_add_f32_e32 v61, v97, v99
	v_mul_f32_e32 v97, 0xbf6f5d39, v60
	v_mov_b32_e32 v99, v97
	v_fma_f32 v97, v51, s7, -v97
	v_fmac_f32_e32 v115, 0x3f52af12, v55
	v_fmac_f32_e32 v99, 0xbeb58ec6, v51
	v_mul_f32_e32 v116, 0xbeb58ec6, v52
	v_add_f32_e32 v97, v97, v120
	v_mul_f32_e32 v120, 0xbe750f2a, v60
	v_add_f32_e32 v115, v115, v119
	v_add_f32_e32 v99, v99, v121
	v_mov_b32_e32 v119, v116
	v_fmac_f32_e32 v116, 0xbf6f5d39, v55
	v_mov_b32_e32 v121, v120
	v_fma_f32 v120, v51, s13, -v120
	v_fmac_f32_e32 v119, 0x3f6f5d39, v55
	v_add_f32_e32 v116, v116, v122
	v_fmac_f32_e32 v121, 0xbf788fa5, v51
	v_mul_f32_e32 v122, 0xbf788fa5, v52
	v_add_f32_e32 v120, v120, v124
	v_mul_f32_e32 v124, 0x3f29c268, v60
	v_add_f32_e32 v119, v119, v123
	v_add_f32_e32 v121, v121, v125
	v_mov_b32_e32 v123, v122
	v_fmac_f32_e32 v122, 0xbe750f2a, v55
	v_mov_b32_e32 v125, v124
	v_fma_f32 v124, v51, s12, -v124
	v_fmac_f32_e32 v123, 0x3e750f2a, v55
	v_add_f32_e32 v122, v122, v126
	v_fmac_f32_e32 v125, 0xbf3f9e67, v51
	v_mul_f32_e32 v126, 0xbf3f9e67, v52
	v_add_f32_e32 v124, v124, v128
	v_mul_f32_e32 v128, 0x3f7e222b, v60
	v_add_f32_e32 v123, v123, v127
	v_add_f32_e32 v125, v125, v129
	v_mov_b32_e32 v127, v126
	v_fmac_f32_e32 v126, 0x3f29c268, v55
	v_mov_b32_e32 v129, v128
	v_fma_f32 v128, v51, s2, -v128
	v_mul_f32_e32 v60, 0x3eedf032, v60
	v_fmac_f32_e32 v127, 0xbf29c268, v55
	v_add_f32_e32 v126, v126, v130
	v_fmac_f32_e32 v129, 0x3df6dbef, v51
	v_mul_f32_e32 v130, 0x3df6dbef, v52
	v_add_f32_e32 v128, v128, v132
	v_mov_b32_e32 v132, v60
	v_mul_f32_e32 v52, 0x3f62ad3f, v52
	v_add_f32_e32 v127, v127, v131
	v_add_f32_e32 v129, v129, v133
	v_mov_b32_e32 v131, v130
	v_fmac_f32_e32 v132, 0x3f62ad3f, v51
	v_mov_b32_e32 v133, v52
	v_fma_f32 v51, v51, s6, -v60
	v_sub_f32_e32 v60, v63, v114
	v_fmac_f32_e32 v131, 0xbf7e222b, v55
	v_fmac_f32_e32 v130, 0x3f7e222b, v55
	;; [unrolled: 1-line block ×3, first 2 shown]
	v_add_f32_e32 v41, v51, v41
	v_fmac_f32_e32 v52, 0x3eedf032, v55
	v_add_f32_e32 v51, v113, v62
	v_sub_f32_e32 v55, v62, v113
	v_mul_f32_e32 v62, 0xbf7e222b, v60
	v_add_f32_e32 v40, v52, v40
	v_add_f32_e32 v52, v114, v63
	v_mov_b32_e32 v63, v62
	v_fmac_f32_e32 v63, 0x3df6dbef, v51
	v_add_f32_e32 v54, v63, v54
	v_mul_f32_e32 v63, 0x3df6dbef, v52
	v_fma_f32 v62, v51, s2, -v62
	v_mov_b32_e32 v113, v63
	v_add_f32_e32 v53, v62, v53
	v_fmac_f32_e32 v63, 0xbf7e222b, v55
	v_mul_f32_e32 v62, 0xbe750f2a, v60
	v_add_f32_e32 v61, v63, v61
	v_mov_b32_e32 v63, v62
	v_fmac_f32_e32 v63, 0xbf788fa5, v51
	v_add_f32_e32 v63, v63, v99
	v_mul_f32_e32 v99, 0xbf788fa5, v52
	v_mov_b32_e32 v114, v99
	v_fma_f32 v62, v51, s13, -v62
	v_fmac_f32_e32 v99, 0xbe750f2a, v55
	v_fmac_f32_e32 v113, 0x3f7e222b, v55
	v_add_f32_e32 v62, v62, v97
	v_add_f32_e32 v97, v99, v116
	v_mul_f32_e32 v99, 0x3f6f5d39, v60
	v_add_f32_e32 v113, v113, v115
	v_mov_b32_e32 v115, v99
	v_fma_f32 v99, v51, s7, -v99
	v_fmac_f32_e32 v114, 0x3e750f2a, v55
	v_fmac_f32_e32 v115, 0xbeb58ec6, v51
	v_mul_f32_e32 v116, 0xbeb58ec6, v52
	v_add_f32_e32 v99, v99, v120
	v_mul_f32_e32 v120, 0x3eedf032, v60
	v_add_f32_e32 v114, v114, v119
	v_add_f32_e32 v115, v115, v121
	v_mov_b32_e32 v119, v116
	v_fmac_f32_e32 v116, 0x3f6f5d39, v55
	v_mov_b32_e32 v121, v120
	v_fma_f32 v120, v51, s6, -v120
	v_fmac_f32_e32 v119, 0xbf6f5d39, v55
	v_add_f32_e32 v116, v116, v122
	v_fmac_f32_e32 v121, 0x3f62ad3f, v51
	v_mul_f32_e32 v122, 0x3f62ad3f, v52
	v_add_f32_e32 v120, v120, v124
	v_mul_f32_e32 v124, 0xbf52af12, v60
	v_add_f32_e32 v119, v119, v123
	v_add_f32_e32 v121, v121, v125
	v_mov_b32_e32 v123, v122
	v_fmac_f32_e32 v122, 0x3eedf032, v55
	v_mov_b32_e32 v125, v124
	v_fma_f32 v124, v51, s3, -v124
	v_mul_f32_e32 v60, 0xbf29c268, v60
	v_fmac_f32_e32 v123, 0xbeedf032, v55
	v_add_f32_e32 v122, v122, v126
	v_fmac_f32_e32 v125, 0x3f116cb1, v51
	v_mul_f32_e32 v126, 0x3f116cb1, v52
	v_add_f32_e32 v124, v124, v128
	v_mov_b32_e32 v128, v60
	v_mul_f32_e32 v52, 0xbf3f9e67, v52
	v_add_f32_e32 v123, v123, v127
	v_add_f32_e32 v125, v125, v129
	v_mov_b32_e32 v127, v126
	v_fmac_f32_e32 v128, 0xbf3f9e67, v51
	v_mov_b32_e32 v129, v52
	v_fma_f32 v51, v51, s12, -v60
	v_sub_f32_e32 v60, v102, v112
	v_fmac_f32_e32 v127, 0x3f52af12, v55
	v_fmac_f32_e32 v126, 0xbf52af12, v55
	;; [unrolled: 1-line block ×3, first 2 shown]
	v_add_f32_e32 v41, v51, v41
	v_fmac_f32_e32 v52, 0xbf29c268, v55
	v_add_f32_e32 v51, v111, v101
	v_sub_f32_e32 v55, v101, v111
	v_mul_f32_e32 v101, 0xbf6f5d39, v60
	v_add_f32_e32 v40, v52, v40
	v_add_f32_e32 v52, v112, v102
	v_mov_b32_e32 v102, v101
	v_fmac_f32_e32 v102, 0xbeb58ec6, v51
	v_add_f32_e32 v54, v102, v54
	v_mul_f32_e32 v102, 0xbeb58ec6, v52
	v_fma_f32 v101, v51, s7, -v101
	v_mov_b32_e32 v111, v102
	v_add_f32_e32 v53, v101, v53
	v_fmac_f32_e32 v102, 0xbf6f5d39, v55
	v_mul_f32_e32 v101, 0x3f29c268, v60
	v_add_f32_e32 v61, v102, v61
	v_mov_b32_e32 v102, v101
	v_fmac_f32_e32 v102, 0xbf3f9e67, v51
	v_add_f32_e32 v63, v102, v63
	v_mul_f32_e32 v102, 0xbf3f9e67, v52
	v_fmac_f32_e32 v111, 0x3f6f5d39, v55
	v_mov_b32_e32 v112, v102
	v_fma_f32 v101, v51, s12, -v101
	v_add_f32_e32 v111, v111, v113
	v_fmac_f32_e32 v112, 0xbf29c268, v55
	v_add_f32_e32 v62, v101, v62
	v_fmac_f32_e32 v102, 0x3f29c268, v55
	v_mul_f32_e32 v101, 0x3eedf032, v60
	v_mul_f32_e32 v113, 0x3f62ad3f, v52
	v_add_f32_e32 v112, v112, v114
	v_add_f32_e32 v97, v102, v97
	v_mov_b32_e32 v102, v101
	v_mov_b32_e32 v114, v113
	v_fma_f32 v101, v51, s6, -v101
	v_fmac_f32_e32 v113, 0x3eedf032, v55
	v_fmac_f32_e32 v102, 0x3f62ad3f, v51
	v_add_f32_e32 v99, v101, v99
	v_add_f32_e32 v101, v113, v116
	v_mul_f32_e32 v113, 0xbf7e222b, v60
	v_add_f32_e32 v102, v102, v115
	v_mov_b32_e32 v115, v113
	v_fma_f32 v113, v51, s2, -v113
	v_fmac_f32_e32 v114, 0xbeedf032, v55
	v_fmac_f32_e32 v115, 0x3df6dbef, v51
	v_mul_f32_e32 v116, 0x3df6dbef, v52
	v_add_f32_e32 v113, v113, v120
	v_mul_f32_e32 v120, 0x3e750f2a, v60
	v_add_f32_e32 v114, v114, v119
	v_add_f32_e32 v115, v115, v121
	v_mov_b32_e32 v119, v116
	v_fmac_f32_e32 v116, 0xbf7e222b, v55
	v_mov_b32_e32 v121, v120
	v_fma_f32 v120, v51, s13, -v120
	v_mul_f32_e32 v60, 0x3f52af12, v60
	v_fmac_f32_e32 v119, 0x3f7e222b, v55
	v_add_f32_e32 v116, v116, v122
	v_fmac_f32_e32 v121, 0xbf788fa5, v51
	v_mul_f32_e32 v122, 0xbf788fa5, v52
	v_add_f32_e32 v120, v120, v124
	v_mov_b32_e32 v124, v60
	v_mul_f32_e32 v52, 0x3f116cb1, v52
	v_add_f32_e32 v119, v119, v123
	v_add_f32_e32 v121, v121, v125
	v_mov_b32_e32 v123, v122
	v_fmac_f32_e32 v124, 0x3f116cb1, v51
	v_mov_b32_e32 v125, v52
	v_fma_f32 v51, v51, s3, -v60
	v_sub_f32_e32 v60, v104, v110
	v_fmac_f32_e32 v123, 0xbe750f2a, v55
	v_fmac_f32_e32 v122, 0x3e750f2a, v55
	;; [unrolled: 1-line block ×3, first 2 shown]
	v_add_f32_e32 v41, v51, v41
	v_fmac_f32_e32 v52, 0x3f52af12, v55
	v_add_f32_e32 v51, v109, v103
	v_sub_f32_e32 v55, v103, v109
	v_mul_f32_e32 v103, 0xbf29c268, v60
	v_add_f32_e32 v40, v52, v40
	v_add_f32_e32 v52, v110, v104
	v_mov_b32_e32 v104, v103
	v_fmac_f32_e32 v104, 0xbf3f9e67, v51
	v_add_f32_e32 v54, v104, v54
	v_mul_f32_e32 v104, 0xbf3f9e67, v52
	v_fma_f32 v103, v51, s12, -v103
	v_mov_b32_e32 v109, v104
	v_add_f32_e32 v53, v103, v53
	v_fmac_f32_e32 v104, 0xbf29c268, v55
	v_mul_f32_e32 v103, 0x3f7e222b, v60
	v_add_f32_e32 v61, v104, v61
	v_mov_b32_e32 v104, v103
	v_fmac_f32_e32 v104, 0x3df6dbef, v51
	v_add_f32_e32 v63, v104, v63
	v_mul_f32_e32 v104, 0x3df6dbef, v52
	v_fma_f32 v103, v51, s2, -v103
	v_mov_b32_e32 v110, v104
	v_add_f32_e32 v62, v103, v62
	v_fmac_f32_e32 v104, 0x3f7e222b, v55
	v_mul_f32_e32 v103, 0xbf52af12, v60
	v_add_f32_e32 v97, v104, v97
	v_mov_b32_e32 v104, v103
	v_fmac_f32_e32 v104, 0x3f116cb1, v51
	v_fmac_f32_e32 v109, 0x3f29c268, v55
	v_add_f32_e32 v102, v104, v102
	v_mul_f32_e32 v104, 0x3f116cb1, v52
	v_add_f32_e32 v109, v109, v111
	v_mov_b32_e32 v111, v104
	v_fma_f32 v103, v51, s3, -v103
	v_fmac_f32_e32 v104, 0xbf52af12, v55
	v_add_f32_e32 v99, v103, v99
	v_add_f32_e32 v103, v104, v101
	v_mul_f32_e32 v101, 0x3e750f2a, v60
	v_mov_b32_e32 v104, v101
	v_fma_f32 v101, v51, s13, -v101
	v_fmac_f32_e32 v110, 0xbf7e222b, v55
	v_fmac_f32_e32 v104, 0xbf788fa5, v51
	v_add_f32_e32 v113, v101, v113
	v_mul_f32_e32 v101, 0x3eedf032, v60
	v_add_f32_e32 v132, v132, v136
	v_add_f32_e32 v110, v110, v112
	v_fmac_f32_e32 v111, 0x3f52af12, v55
	v_add_f32_e32 v104, v104, v115
	v_mul_f32_e32 v112, 0xbf788fa5, v52
	v_mov_b32_e32 v115, v101
	v_fma_f32 v101, v51, s6, -v101
	v_mul_f32_e32 v60, 0xbf6f5d39, v60
	v_add_f32_e32 v128, v128, v132
	v_add_f32_e32 v111, v111, v114
	v_mov_b32_e32 v114, v112
	v_fmac_f32_e32 v112, 0x3e750f2a, v55
	v_add_f32_e32 v120, v101, v120
	v_mov_b32_e32 v101, v60
	v_add_f32_e32 v130, v130, v134
	v_add_f32_e32 v133, v133, v137
	;; [unrolled: 1-line block ×4, first 2 shown]
	v_fmac_f32_e32 v115, 0x3f62ad3f, v51
	v_mul_f32_e32 v116, 0x3f62ad3f, v52
	v_fmac_f32_e32 v101, 0xbeb58ec6, v51
	v_mul_f32_e32 v52, 0xbeb58ec6, v52
	v_add_f32_e32 v131, v131, v135
	v_add_f32_e32 v126, v126, v130
	;; [unrolled: 1-line block ×3, first 2 shown]
	v_fmac_f32_e32 v114, 0xbe750f2a, v55
	v_add_f32_e32 v115, v115, v121
	v_add_f32_e32 v121, v101, v124
	v_mov_b32_e32 v101, v52
	v_add_f32_e32 v127, v127, v131
	v_add_f32_e32 v122, v122, v126
	v_add_f32_e32 v125, v125, v129
	v_add_f32_e32 v114, v114, v119
	v_mov_b32_e32 v119, v116
	v_fmac_f32_e32 v116, 0x3eedf032, v55
	v_fmac_f32_e32 v101, 0x3f6f5d39, v55
	v_add_f32_e32 v123, v123, v127
	v_fmac_f32_e32 v119, 0xbeedf032, v55
	v_add_f32_e32 v116, v116, v122
	v_add_f32_e32 v122, v101, v125
	v_fma_f32 v51, v51, s7, -v60
	v_fmac_f32_e32 v52, 0xbf6f5d39, v55
	v_add_f32_e32 v125, v108, v106
	v_sub_f32_e32 v127, v106, v108
	v_add_f32_e32 v119, v119, v123
	v_add_f32_e32 v123, v51, v41
	;; [unrolled: 1-line block ×3, first 2 shown]
	v_sub_f32_e32 v126, v105, v107
	v_mul_f32_e32 v51, 0xbe750f2a, v127
	v_mul_f32_e32 v52, 0xbf788fa5, v125
	v_add_f32_e32 v124, v107, v105
	v_mov_b32_e32 v40, v51
	v_mov_b32_e32 v41, v52
	v_fmac_f32_e32 v52, 0xbe750f2a, v126
	v_fmac_f32_e32 v40, 0xbf788fa5, v124
	v_add_f32_e32 v52, v52, v61
	v_mul_f32_e32 v61, 0x3f62ad3f, v125
	v_add_f32_e32 v40, v40, v54
	v_fma_f32 v51, v124, s13, -v51
	v_mul_f32_e32 v60, 0x3eedf032, v127
	v_mov_b32_e32 v54, v61
	v_fmac_f32_e32 v61, 0x3eedf032, v126
	v_add_f32_e32 v51, v51, v53
	v_mov_b32_e32 v53, v60
	v_fma_f32 v60, v124, s6, -v60
	v_add_f32_e32 v61, v61, v97
	v_mul_f32_e32 v97, 0xbf29c268, v127
	v_add_f32_e32 v60, v60, v62
	v_mov_b32_e32 v62, v97
	v_fma_f32 v97, v124, s12, -v97
	v_fmac_f32_e32 v62, 0xbf3f9e67, v124
	v_add_f32_e32 v101, v97, v99
	v_mul_f32_e32 v97, 0x3f52af12, v127
	v_fmac_f32_e32 v53, 0x3f62ad3f, v124
	v_add_f32_e32 v62, v62, v102
	v_mul_f32_e32 v102, 0xbf3f9e67, v125
	v_mov_b32_e32 v99, v97
	v_add_f32_e32 v53, v53, v63
	v_mov_b32_e32 v63, v102
	v_fmac_f32_e32 v102, 0xbf29c268, v126
	v_fmac_f32_e32 v99, 0x3f116cb1, v124
	v_add_f32_e32 v102, v102, v103
	v_add_f32_e32 v103, v99, v104
	v_mul_f32_e32 v99, 0x3f116cb1, v125
	v_fma_f32 v97, v124, s3, -v97
	v_mov_b32_e32 v104, v99
	v_add_f32_e32 v105, v97, v113
	v_fmac_f32_e32 v99, 0x3f52af12, v126
	v_mul_f32_e32 v97, 0xbf6f5d39, v127
	v_add_f32_e32 v106, v99, v112
	v_mov_b32_e32 v99, v97
	v_fmac_f32_e32 v99, 0xbeb58ec6, v124
	v_fmac_f32_e32 v41, 0x3e750f2a, v126
	v_add_f32_e32 v107, v99, v115
	v_mul_f32_e32 v99, 0xbeb58ec6, v125
	v_fma_f32 v97, v124, s7, -v97
	v_add_f32_e32 v41, v41, v109
	v_fmac_f32_e32 v54, 0xbeedf032, v126
	v_mov_b32_e32 v108, v99
	v_add_f32_e32 v109, v97, v120
	v_fmac_f32_e32 v99, 0xbf6f5d39, v126
	v_mul_f32_e32 v97, 0x3f7e222b, v127
	v_add_f32_e32 v54, v54, v110
	v_add_f32_e32 v110, v99, v116
	v_mov_b32_e32 v99, v97
	v_fmac_f32_e32 v63, 0x3f29c268, v126
	v_fmac_f32_e32 v99, 0x3df6dbef, v124
	v_add_f32_e32 v63, v63, v111
	v_add_f32_e32 v111, v99, v121
	v_mul_f32_e32 v99, 0x3df6dbef, v125
	v_mov_b32_e32 v112, v99
	v_fmac_f32_e32 v104, 0xbf52af12, v126
	v_fmac_f32_e32 v108, 0x3f6f5d39, v126
	;; [unrolled: 1-line block ×3, first 2 shown]
	v_fma_f32 v97, v124, s2, -v97
	v_fmac_f32_e32 v99, 0x3f7e222b, v126
	v_add_f32_e32 v104, v104, v114
	v_add_f32_e32 v108, v108, v119
	;; [unrolled: 1-line block ×5, first 2 shown]
	s_waitcnt lgkmcnt(0)
	; wave barrier
	ds_write2_b64 v98, v[117:118], v[40:41] offset1:1
	ds_write2_b64 v98, v[53:54], v[62:63] offset0:2 offset1:3
	ds_write2_b64 v98, v[103:104], v[107:108] offset0:4 offset1:5
	;; [unrolled: 1-line block ×5, first 2 shown]
	ds_write_b64 v98, v[51:52] offset:96
	s_waitcnt lgkmcnt(0)
	; wave barrier
	s_waitcnt lgkmcnt(0)
	ds_read2_b64 v[51:54], v95 offset1:52
	ds_read2_b64 v[60:63], v95 offset0:104 offset1:156
	ds_read2_b64 v[101:104], v48 offset0:80 offset1:132
	;; [unrolled: 1-line block ×5, first 2 shown]
	ds_read_b64 v[40:41], v95 offset:4992
	s_waitcnt lgkmcnt(6)
	v_mul_f32_e32 v55, v13, v54
	v_mul_f32_e32 v13, v13, v53
	v_fmac_f32_e32 v55, v12, v53
	v_fma_f32 v12, v12, v54, -v13
	s_waitcnt lgkmcnt(5)
	v_mul_f32_e32 v13, v15, v61
	v_mul_f32_e32 v15, v15, v60
	v_fmac_f32_e32 v13, v14, v60
	v_fma_f32 v14, v14, v61, -v15
	v_mul_f32_e32 v15, v9, v63
	v_mul_f32_e32 v9, v9, v62
	v_fmac_f32_e32 v15, v8, v62
	v_fma_f32 v8, v8, v63, -v9
	s_waitcnt lgkmcnt(4)
	v_mul_f32_e32 v9, v11, v102
	v_mul_f32_e32 v11, v11, v101
	v_fmac_f32_e32 v9, v10, v101
	v_fma_f32 v10, v10, v102, -v11
	;; [unrolled: 9-line block ×6, first 2 shown]
	v_add_f32_e32 v0, v51, v55
	v_add_f32_e32 v0, v0, v13
	;; [unrolled: 1-line block ×24, first 2 shown]
	v_sub_f32_e32 v17, v55, v17
	v_mul_f32_e32 v55, 0x3f62ad3f, v40
	v_mul_f32_e32 v63, 0x3f116cb1, v40
	;; [unrolled: 1-line block ×6, first 2 shown]
	v_add_f32_e32 v1, v1, v16
	v_sub_f32_e32 v12, v12, v18
	v_mov_b32_e32 v60, v55
	v_mov_b32_e32 v97, v63
	;; [unrolled: 1-line block ×6, first 2 shown]
	v_fmac_f32_e32 v40, 0xbe750f2a, v17
	v_add_f32_e32 v1, v1, v18
	v_mul_f32_e32 v18, 0xbeedf032, v12
	v_fmac_f32_e32 v60, 0x3eedf032, v17
	v_fmac_f32_e32 v55, 0xbeedf032, v17
	v_mul_f32_e32 v61, 0xbf52af12, v12
	v_fmac_f32_e32 v97, 0x3f52af12, v17
	v_fmac_f32_e32 v63, 0xbf52af12, v17
	v_mul_f32_e32 v98, 0xbf7e222b, v12
	v_fmac_f32_e32 v102, 0x3f7e222b, v17
	v_fmac_f32_e32 v101, 0xbf7e222b, v17
	v_mul_f32_e32 v103, 0xbf6f5d39, v12
	v_fmac_f32_e32 v106, 0x3f6f5d39, v17
	v_fmac_f32_e32 v105, 0xbf6f5d39, v17
	v_mul_f32_e32 v107, 0xbf29c268, v12
	v_fmac_f32_e32 v110, 0x3f29c268, v17
	v_fmac_f32_e32 v109, 0xbf29c268, v17
	v_mul_f32_e32 v12, 0xbe750f2a, v12
	v_fmac_f32_e32 v112, 0x3e750f2a, v17
	v_add_f32_e32 v17, v52, v40
	v_add_f32_e32 v40, v14, v16
	v_sub_f32_e32 v14, v14, v16
	v_mov_b32_e32 v41, v18
	v_mov_b32_e32 v62, v61
	;; [unrolled: 1-line block ×6, first 2 shown]
	v_mul_f32_e32 v16, 0xbf52af12, v14
	v_fmac_f32_e32 v41, 0x3f62ad3f, v19
	v_fma_f32 v18, v19, s6, -v18
	v_fmac_f32_e32 v62, 0x3f116cb1, v19
	v_fma_f32 v61, v19, s3, -v61
	;; [unrolled: 2-line block ×6, first 2 shown]
	v_add_f32_e32 v19, v13, v23
	v_sub_f32_e32 v13, v13, v23
	v_mov_b32_e32 v23, v16
	v_add_f32_e32 v41, v51, v41
	v_fmac_f32_e32 v23, 0x3f116cb1, v19
	v_add_f32_e32 v23, v23, v41
	v_mul_f32_e32 v41, 0x3f116cb1, v40
	v_add_f32_e32 v18, v51, v18
	v_add_f32_e32 v55, v52, v55
	;; [unrolled: 1-line block ×12, first 2 shown]
	v_mov_b32_e32 v51, v41
	v_fma_f32 v16, v19, s3, -v16
	v_fmac_f32_e32 v41, 0xbf52af12, v13
	v_add_f32_e32 v16, v16, v18
	v_add_f32_e32 v18, v41, v55
	v_mul_f32_e32 v41, 0xbf6f5d39, v14
	v_add_f32_e32 v60, v52, v60
	v_add_f32_e32 v97, v52, v97
	;; [unrolled: 1-line block ×10, first 2 shown]
	v_mov_b32_e32 v52, v41
	v_fma_f32 v41, v19, s7, -v41
	v_fmac_f32_e32 v51, 0x3f52af12, v13
	v_fmac_f32_e32 v52, 0xbeb58ec6, v19
	v_mul_f32_e32 v55, 0xbeb58ec6, v40
	v_add_f32_e32 v41, v41, v61
	v_mul_f32_e32 v61, 0xbe750f2a, v14
	v_add_f32_e32 v51, v51, v60
	v_add_f32_e32 v52, v52, v62
	v_mov_b32_e32 v60, v55
	v_fmac_f32_e32 v55, 0xbf6f5d39, v13
	v_mov_b32_e32 v62, v61
	v_fma_f32 v61, v19, s13, -v61
	v_fmac_f32_e32 v60, 0x3f6f5d39, v13
	v_add_f32_e32 v55, v55, v63
	v_fmac_f32_e32 v62, 0xbf788fa5, v19
	v_mul_f32_e32 v63, 0xbf788fa5, v40
	v_add_f32_e32 v61, v61, v98
	v_mul_f32_e32 v98, 0x3f29c268, v14
	v_add_f32_e32 v60, v60, v97
	v_add_f32_e32 v62, v62, v99
	v_mov_b32_e32 v97, v63
	v_fmac_f32_e32 v63, 0xbe750f2a, v13
	v_mov_b32_e32 v99, v98
	v_fma_f32 v98, v19, s12, -v98
	v_fmac_f32_e32 v97, 0x3e750f2a, v13
	v_add_f32_e32 v63, v63, v101
	v_fmac_f32_e32 v99, 0xbf3f9e67, v19
	v_mul_f32_e32 v101, 0xbf3f9e67, v40
	v_add_f32_e32 v98, v98, v103
	v_mul_f32_e32 v103, 0x3f7e222b, v14
	v_add_f32_e32 v97, v97, v102
	v_add_f32_e32 v99, v99, v104
	v_mov_b32_e32 v102, v101
	v_fmac_f32_e32 v101, 0x3f29c268, v13
	v_mov_b32_e32 v104, v103
	v_fmac_f32_e32 v102, 0xbf29c268, v13
	v_add_f32_e32 v101, v101, v105
	v_fmac_f32_e32 v104, 0x3df6dbef, v19
	v_mul_f32_e32 v105, 0x3df6dbef, v40
	v_mul_f32_e32 v40, 0x3f62ad3f, v40
	v_add_f32_e32 v102, v102, v106
	v_add_f32_e32 v104, v104, v108
	v_mov_b32_e32 v106, v105
	v_fma_f32 v103, v19, s2, -v103
	v_mul_f32_e32 v14, 0x3eedf032, v14
	v_mov_b32_e32 v108, v40
	v_fmac_f32_e32 v40, 0x3eedf032, v13
	v_fmac_f32_e32 v106, 0xbf7e222b, v13
	v_add_f32_e32 v103, v103, v107
	v_fmac_f32_e32 v105, 0x3f7e222b, v13
	v_mov_b32_e32 v107, v14
	v_fmac_f32_e32 v108, 0xbeedf032, v13
	v_add_f32_e32 v13, v40, v17
	v_add_f32_e32 v17, v8, v22
	v_sub_f32_e32 v8, v8, v22
	v_fmac_f32_e32 v107, 0x3f62ad3f, v19
	v_fma_f32 v14, v19, s6, -v14
	v_mul_f32_e32 v19, 0xbf7e222b, v8
	v_add_f32_e32 v12, v14, v12
	v_add_f32_e32 v14, v15, v21
	v_sub_f32_e32 v15, v15, v21
	v_mov_b32_e32 v21, v19
	v_fmac_f32_e32 v21, 0x3df6dbef, v14
	v_mul_f32_e32 v22, 0x3df6dbef, v17
	v_fma_f32 v19, v14, s2, -v19
	v_add_f32_e32 v21, v21, v23
	v_mov_b32_e32 v23, v22
	v_add_f32_e32 v16, v19, v16
	v_fmac_f32_e32 v22, 0xbf7e222b, v15
	v_mul_f32_e32 v19, 0xbe750f2a, v8
	v_add_f32_e32 v18, v22, v18
	v_mov_b32_e32 v22, v19
	v_fma_f32 v19, v14, s13, -v19
	v_fmac_f32_e32 v23, 0x3f7e222b, v15
	v_fmac_f32_e32 v22, 0xbf788fa5, v14
	v_mul_f32_e32 v40, 0xbf788fa5, v17
	v_add_f32_e32 v19, v19, v41
	v_mul_f32_e32 v41, 0x3f6f5d39, v8
	v_add_f32_e32 v23, v23, v51
	v_add_f32_e32 v22, v22, v52
	v_mov_b32_e32 v51, v40
	v_fmac_f32_e32 v40, 0xbe750f2a, v15
	v_mov_b32_e32 v52, v41
	v_fma_f32 v41, v14, s7, -v41
	v_fmac_f32_e32 v51, 0x3e750f2a, v15
	v_add_f32_e32 v40, v40, v55
	v_fmac_f32_e32 v52, 0xbeb58ec6, v14
	v_mul_f32_e32 v55, 0xbeb58ec6, v17
	v_add_f32_e32 v41, v41, v61
	v_mul_f32_e32 v61, 0x3eedf032, v8
	v_add_f32_e32 v51, v51, v60
	v_add_f32_e32 v52, v52, v62
	v_mov_b32_e32 v60, v55
	v_fmac_f32_e32 v55, 0x3f6f5d39, v15
	v_mov_b32_e32 v62, v61
	v_fma_f32 v61, v14, s6, -v61
	v_fmac_f32_e32 v60, 0xbf6f5d39, v15
	v_add_f32_e32 v55, v55, v63
	v_fmac_f32_e32 v62, 0x3f62ad3f, v14
	v_mul_f32_e32 v63, 0x3f62ad3f, v17
	v_add_f32_e32 v61, v61, v98
	v_mul_f32_e32 v98, 0xbf52af12, v8
	v_add_f32_e32 v60, v60, v97
	v_add_f32_e32 v62, v62, v99
	v_mov_b32_e32 v97, v63
	v_fmac_f32_e32 v63, 0x3eedf032, v15
	v_mov_b32_e32 v99, v98
	v_add_f32_e32 v63, v63, v101
	v_fmac_f32_e32 v99, 0x3f116cb1, v14
	v_mul_f32_e32 v101, 0x3f116cb1, v17
	v_fma_f32 v98, v14, s3, -v98
	v_mul_f32_e32 v8, 0xbf29c268, v8
	v_mul_f32_e32 v17, 0xbf3f9e67, v17
	v_add_f32_e32 v99, v99, v104
	v_add_f32_e32 v98, v98, v103
	v_mov_b32_e32 v103, v8
	v_mov_b32_e32 v104, v17
	v_fma_f32 v8, v14, s12, -v8
	v_fmac_f32_e32 v17, 0xbf29c268, v15
	v_fmac_f32_e32 v97, 0xbeedf032, v15
	v_fmac_f32_e32 v103, 0xbf3f9e67, v14
	v_add_f32_e32 v8, v8, v12
	v_add_f32_e32 v12, v17, v13
	;; [unrolled: 1-line block ×4, first 2 shown]
	v_sub_f32_e32 v3, v9, v3
	v_sub_f32_e32 v9, v10, v20
	v_add_f32_e32 v97, v97, v102
	v_mov_b32_e32 v102, v101
	v_mul_f32_e32 v10, 0xbf6f5d39, v9
	v_mul_f32_e32 v17, 0xbeb58ec6, v14
	v_fmac_f32_e32 v102, 0x3f52af12, v15
	v_fmac_f32_e32 v101, 0xbf52af12, v15
	;; [unrolled: 1-line block ×3, first 2 shown]
	v_mov_b32_e32 v15, v10
	v_mov_b32_e32 v20, v17
	v_fma_f32 v10, v13, s7, -v10
	v_fmac_f32_e32 v17, 0xbf6f5d39, v3
	v_add_f32_e32 v10, v10, v16
	v_add_f32_e32 v16, v17, v18
	v_mul_f32_e32 v17, 0x3f29c268, v9
	v_fmac_f32_e32 v15, 0xbeb58ec6, v13
	v_mov_b32_e32 v18, v17
	v_add_f32_e32 v15, v15, v21
	v_fmac_f32_e32 v18, 0xbf3f9e67, v13
	v_mul_f32_e32 v21, 0xbf3f9e67, v14
	v_add_f32_e32 v18, v18, v22
	v_mov_b32_e32 v22, v21
	v_fma_f32 v17, v13, s12, -v17
	v_fmac_f32_e32 v21, 0x3f29c268, v3
	v_fmac_f32_e32 v20, 0x3f6f5d39, v3
	v_add_f32_e32 v17, v17, v19
	v_add_f32_e32 v19, v21, v40
	v_mul_f32_e32 v21, 0x3eedf032, v9
	v_add_f32_e32 v20, v20, v23
	v_mov_b32_e32 v23, v21
	v_fma_f32 v21, v13, s6, -v21
	v_fmac_f32_e32 v22, 0xbf29c268, v3
	v_fmac_f32_e32 v23, 0x3f62ad3f, v13
	v_mul_f32_e32 v40, 0x3f62ad3f, v14
	v_add_f32_e32 v21, v21, v41
	v_mul_f32_e32 v41, 0xbf7e222b, v9
	v_add_f32_e32 v22, v22, v51
	v_add_f32_e32 v23, v23, v52
	v_mov_b32_e32 v51, v40
	v_fmac_f32_e32 v40, 0x3eedf032, v3
	v_mov_b32_e32 v52, v41
	v_fma_f32 v41, v13, s2, -v41
	v_fmac_f32_e32 v51, 0xbeedf032, v3
	v_add_f32_e32 v40, v40, v55
	v_fmac_f32_e32 v52, 0x3df6dbef, v13
	v_mul_f32_e32 v55, 0x3df6dbef, v14
	v_add_f32_e32 v41, v41, v61
	v_mul_f32_e32 v61, 0x3e750f2a, v9
	v_add_f32_e32 v51, v51, v60
	v_add_f32_e32 v52, v52, v62
	v_mov_b32_e32 v60, v55
	v_fmac_f32_e32 v55, 0xbf7e222b, v3
	v_mov_b32_e32 v62, v61
	v_fmac_f32_e32 v60, 0x3f7e222b, v3
	v_add_f32_e32 v55, v55, v63
	v_fmac_f32_e32 v62, 0xbf788fa5, v13
	v_mul_f32_e32 v63, 0xbf788fa5, v14
	v_mul_f32_e32 v14, 0x3f116cb1, v14
	v_add_f32_e32 v60, v60, v97
	v_add_f32_e32 v62, v62, v99
	v_mov_b32_e32 v97, v63
	v_mov_b32_e32 v99, v14
	v_fmac_f32_e32 v14, 0x3f52af12, v3
	v_fmac_f32_e32 v97, 0xbe750f2a, v3
	v_fma_f32 v61, v13, s13, -v61
	v_fmac_f32_e32 v63, 0x3e750f2a, v3
	v_mul_f32_e32 v9, 0x3f52af12, v9
	v_fmac_f32_e32 v99, 0xbf52af12, v3
	v_add_f32_e32 v3, v14, v12
	v_add_f32_e32 v12, v4, v2
	v_sub_f32_e32 v2, v4, v2
	v_add_f32_e32 v61, v61, v98
	v_mov_b32_e32 v98, v9
	v_fma_f32 v9, v13, s3, -v9
	v_mul_f32_e32 v4, 0xbf29c268, v2
	v_fmac_f32_e32 v98, 0x3f116cb1, v13
	v_add_f32_e32 v8, v9, v8
	v_add_f32_e32 v9, v11, v54
	v_mov_b32_e32 v13, v4
	v_sub_f32_e32 v11, v11, v54
	v_fmac_f32_e32 v13, 0xbf3f9e67, v9
	v_mul_f32_e32 v14, 0xbf3f9e67, v12
	v_add_f32_e32 v13, v13, v15
	v_mov_b32_e32 v15, v14
	v_fma_f32 v4, v9, s12, -v4
	v_fmac_f32_e32 v14, 0xbf29c268, v11
	v_add_f32_e32 v4, v4, v10
	v_add_f32_e32 v10, v14, v16
	v_mul_f32_e32 v14, 0x3f7e222b, v2
	v_mov_b32_e32 v16, v14
	v_fmac_f32_e32 v16, 0x3df6dbef, v9
	v_fmac_f32_e32 v15, 0x3f29c268, v11
	v_add_f32_e32 v16, v16, v18
	v_mul_f32_e32 v18, 0x3df6dbef, v12
	v_add_f32_e32 v15, v15, v20
	v_mov_b32_e32 v20, v18
	v_fma_f32 v14, v9, s2, -v14
	v_fmac_f32_e32 v18, 0x3f7e222b, v11
	v_add_f32_e32 v14, v14, v17
	v_add_f32_e32 v17, v18, v19
	v_mul_f32_e32 v18, 0xbf52af12, v2
	v_fmac_f32_e32 v20, 0xbf7e222b, v11
	v_mov_b32_e32 v19, v18
	v_add_f32_e32 v20, v20, v22
	v_fmac_f32_e32 v19, 0x3f116cb1, v9
	v_mul_f32_e32 v22, 0x3f116cb1, v12
	v_add_f32_e32 v19, v19, v23
	v_mov_b32_e32 v23, v22
	v_fma_f32 v18, v9, s3, -v18
	v_fmac_f32_e32 v22, 0xbf52af12, v11
	v_add_f32_e32 v18, v18, v21
	v_add_f32_e32 v21, v22, v40
	v_mul_f32_e32 v22, 0x3e750f2a, v2
	v_mov_b32_e32 v40, v22
	v_fmac_f32_e32 v23, 0x3f52af12, v11
	v_fmac_f32_e32 v40, 0xbf788fa5, v9
	v_add_f32_e32 v23, v23, v51
	v_add_f32_e32 v51, v40, v52
	v_mul_f32_e32 v40, 0xbf788fa5, v12
	v_mov_b32_e32 v52, v40
	v_fmac_f32_e32 v40, 0x3e750f2a, v11
	v_fma_f32 v22, v9, s13, -v22
	v_add_f32_e32 v54, v40, v55
	v_mul_f32_e32 v40, 0x3eedf032, v2
	v_add_f32_e32 v22, v22, v41
	v_mov_b32_e32 v41, v40
	v_add_f32_e32 v105, v105, v109
	v_add_f32_e32 v107, v107, v111
	v_fmac_f32_e32 v41, 0x3f62ad3f, v9
	v_fma_f32 v40, v9, s6, -v40
	v_mul_f32_e32 v2, 0xbf6f5d39, v2
	v_add_f32_e32 v106, v106, v110
	v_add_f32_e32 v101, v101, v105
	;; [unrolled: 1-line block ×3, first 2 shown]
	v_fmac_f32_e32 v52, 0xbe750f2a, v11
	v_add_f32_e32 v55, v41, v62
	v_mul_f32_e32 v41, 0x3f62ad3f, v12
	v_add_f32_e32 v61, v40, v61
	v_mov_b32_e32 v40, v2
	v_add_f32_e32 v108, v108, v112
	v_add_f32_e32 v102, v102, v106
	;; [unrolled: 1-line block ×5, first 2 shown]
	v_mov_b32_e32 v60, v41
	v_fmac_f32_e32 v41, 0x3eedf032, v11
	v_fmac_f32_e32 v40, 0xbeb58ec6, v9
	v_mul_f32_e32 v12, 0xbeb58ec6, v12
	v_add_f32_e32 v104, v104, v108
	v_add_f32_e32 v97, v97, v102
	;; [unrolled: 1-line block ×4, first 2 shown]
	v_mov_b32_e32 v40, v12
	v_add_f32_e32 v102, v6, v53
	v_add_f32_e32 v99, v99, v104
	v_fmac_f32_e32 v60, 0xbeedf032, v11
	v_fmac_f32_e32 v40, 0x3f6f5d39, v11
	;; [unrolled: 1-line block ×3, first 2 shown]
	v_sub_f32_e32 v103, v5, v7
	v_sub_f32_e32 v53, v6, v53
	v_mul_f32_e32 v6, 0xbf788fa5, v102
	v_add_f32_e32 v60, v60, v97
	v_add_f32_e32 v97, v40, v99
	v_fma_f32 v2, v9, s7, -v2
	v_add_f32_e32 v99, v12, v3
	v_add_f32_e32 v101, v5, v7
	v_mul_f32_e32 v5, 0xbe750f2a, v53
	v_mov_b32_e32 v3, v6
	v_fmac_f32_e32 v6, 0xbe750f2a, v103
	v_add_f32_e32 v98, v2, v8
	v_mov_b32_e32 v2, v5
	v_fma_f32 v5, v101, s13, -v5
	v_add_f32_e32 v41, v6, v10
	v_mul_f32_e32 v6, 0x3eedf032, v53
	v_add_f32_e32 v40, v5, v4
	v_mov_b32_e32 v4, v6
	v_fma_f32 v6, v101, s6, -v6
	v_mul_f32_e32 v10, 0xbf29c268, v53
	v_mul_f32_e32 v11, 0xbf3f9e67, v102
	;; [unrolled: 1-line block ×3, first 2 shown]
	v_add_f32_e32 v6, v6, v14
	v_mov_b32_e32 v8, v10
	v_mov_b32_e32 v9, v11
	v_mul_f32_e32 v14, 0x3f52af12, v53
	v_fmac_f32_e32 v3, 0x3e750f2a, v103
	v_mov_b32_e32 v5, v7
	v_fmac_f32_e32 v8, 0xbf3f9e67, v101
	v_fmac_f32_e32 v9, 0x3f29c268, v103
	v_fma_f32 v10, v101, s12, -v10
	v_mov_b32_e32 v12, v14
	v_fma_f32 v14, v101, s3, -v14
	v_fmac_f32_e32 v2, 0xbf788fa5, v101
	v_add_f32_e32 v3, v3, v15
	v_fmac_f32_e32 v4, 0x3f62ad3f, v101
	v_fmac_f32_e32 v5, 0xbeedf032, v103
	v_fmac_f32_e32 v7, 0x3eedf032, v103
	v_add_f32_e32 v8, v8, v19
	v_add_f32_e32 v9, v9, v23
	;; [unrolled: 1-line block ×3, first 2 shown]
	v_fmac_f32_e32 v11, 0xbf29c268, v103
	v_mul_f32_e32 v15, 0x3f116cb1, v102
	v_add_f32_e32 v14, v14, v22
	v_mul_f32_e32 v18, 0xbf6f5d39, v53
	v_mul_f32_e32 v19, 0xbeb58ec6, v102
	;; [unrolled: 1-line block ×4, first 2 shown]
	v_add_f32_e32 v2, v2, v13
	v_add_f32_e32 v4, v4, v16
	;; [unrolled: 1-line block ×5, first 2 shown]
	v_mov_b32_e32 v13, v15
	v_mov_b32_e32 v16, v18
	;; [unrolled: 1-line block ×5, first 2 shown]
	v_fmac_f32_e32 v12, 0x3f116cb1, v101
	v_fmac_f32_e32 v13, 0xbf52af12, v103
	;; [unrolled: 1-line block ×5, first 2 shown]
	v_fma_f32 v18, v101, s7, -v18
	v_fmac_f32_e32 v19, 0xbf6f5d39, v103
	v_fmac_f32_e32 v20, 0x3df6dbef, v101
	;; [unrolled: 1-line block ×3, first 2 shown]
	v_fma_f32 v22, v101, s2, -v22
	v_fmac_f32_e32 v23, 0x3f7e222b, v103
	v_add_f32_e32 v12, v12, v51
	v_add_f32_e32 v13, v13, v52
	;; [unrolled: 1-line block ×11, first 2 shown]
	s_waitcnt lgkmcnt(0)
	; wave barrier
	ds_write2_b64 v100, v[0:1], v[2:3] offset1:13
	ds_write2_b64 v100, v[4:5], v[8:9] offset0:26 offset1:39
	ds_write2_b64 v100, v[12:13], v[16:17] offset0:52 offset1:65
	;; [unrolled: 1-line block ×5, first 2 shown]
	ds_write_b64 v100, v[40:41] offset:1248
	s_waitcnt lgkmcnt(0)
	; wave barrier
	s_waitcnt lgkmcnt(0)
	ds_read2_b64 v[4:7], v95 offset1:52
	ds_read2_b64 v[0:3], v95 offset0:104 offset1:169
	ds_read2_b64 v[20:23], v50 offset0:82 offset1:134
	;; [unrolled: 1-line block ×5, first 2 shown]
	s_and_saveexec_b64 s[2:3], s[0:1]
	s_cbranch_execz .LBB0_7
; %bb.6:
	v_add_u32_e32 v44, 0xe00, v95
	ds_read2_b64 v[40:43], v48 offset0:28 offset1:197
	ds_read2_b64 v[44:47], v44 offset0:46 offset1:215
.LBB0_7:
	s_or_b64 exec, exec, s[2:3]
	s_waitcnt lgkmcnt(4)
	v_mul_f32_e32 v49, v29, v3
	v_fmac_f32_e32 v49, v28, v2
	v_mul_f32_e32 v2, v29, v2
	v_fma_f32 v2, v28, v3, -v2
	s_waitcnt lgkmcnt(3)
	v_mul_f32_e32 v3, v31, v21
	v_fmac_f32_e32 v3, v30, v20
	v_mul_f32_e32 v20, v31, v20
	v_fma_f32 v20, v30, v21, -v20
	;; [unrolled: 5-line block ×3, first 2 shown]
	s_waitcnt lgkmcnt(1)
	v_mul_f32_e32 v28, v37, v17
	v_mul_f32_e32 v11, v37, v16
	v_fmac_f32_e32 v28, v36, v16
	v_fma_f32 v16, v36, v17, -v11
	v_mul_f32_e32 v17, v39, v23
	v_mul_f32_e32 v11, v39, v22
	v_fmac_f32_e32 v17, v38, v22
	v_fma_f32 v22, v38, v23, -v11
	s_waitcnt lgkmcnt(0)
	v_mul_f32_e32 v23, v94, v13
	v_mul_f32_e32 v11, v94, v12
	v_fmac_f32_e32 v23, v93, v12
	v_fma_f32 v12, v93, v13, -v11
	v_mul_f32_e32 v29, v33, v19
	v_mul_f32_e32 v11, v33, v18
	v_fmac_f32_e32 v29, v32, v18
	v_fma_f32 v18, v32, v19, -v11
	v_mul_f32_e32 v19, v35, v9
	v_fmac_f32_e32 v19, v34, v8
	v_mul_f32_e32 v8, v35, v8
	v_fma_f32 v30, v34, v9, -v8
	v_mul_f32_e32 v8, v59, v14
	v_fma_f32 v32, v58, v15, -v8
	v_sub_f32_e32 v11, v4, v3
	v_sub_f32_e32 v13, v5, v20
	;; [unrolled: 1-line block ×4, first 2 shown]
	v_mul_f32_e32 v31, v59, v15
	v_fma_f32 v4, v4, 2.0, -v11
	v_fma_f32 v5, v5, 2.0, -v13
	v_fma_f32 v3, v49, 2.0, -v9
	v_fma_f32 v10, v2, 2.0, -v8
	v_add_f32_e32 v8, v11, v8
	v_sub_f32_e32 v9, v13, v9
	v_sub_f32_e32 v17, v6, v17
	;; [unrolled: 1-line block ×5, first 2 shown]
	v_fmac_f32_e32 v31, v58, v14
	v_sub_f32_e32 v2, v4, v3
	v_sub_f32_e32 v3, v5, v10
	v_fma_f32 v10, v11, 2.0, -v8
	v_fma_f32 v11, v13, 2.0, -v9
	;; [unrolled: 1-line block ×6, first 2 shown]
	v_sub_f32_e32 v6, v13, v6
	v_sub_f32_e32 v7, v14, v7
	v_fma_f32 v12, v13, 2.0, -v6
	v_fma_f32 v13, v14, 2.0, -v7
	v_add_f32_e32 v14, v17, v21
	v_sub_f32_e32 v15, v20, v15
	v_sub_f32_e32 v22, v0, v19
	;; [unrolled: 1-line block ×5, first 2 shown]
	v_fma_f32 v16, v17, 2.0, -v14
	v_fma_f32 v17, v20, 2.0, -v15
	v_fma_f32 v19, v0, 2.0, -v22
	v_fma_f32 v20, v1, 2.0, -v23
	v_fma_f32 v0, v29, 2.0, -v21
	v_fma_f32 v1, v18, 2.0, -v28
	v_sub_f32_e32 v0, v19, v0
	v_sub_f32_e32 v1, v20, v1
	v_fma_f32 v18, v19, 2.0, -v0
	v_fma_f32 v19, v20, 2.0, -v1
	v_add_f32_e32 v20, v22, v28
	v_sub_f32_e32 v21, v23, v21
	v_fma_f32 v4, v4, 2.0, -v2
	v_fma_f32 v5, v5, 2.0, -v3
	;; [unrolled: 1-line block ×4, first 2 shown]
	ds_write_b64 v95, v[10:11] offset:1352
	ds_write_b64 v95, v[2:3] offset:2704
	;; [unrolled: 1-line block ×3, first 2 shown]
	ds_write2_b64 v95, v[4:5], v[12:13] offset1:52
	ds_write_b64 v95, v[6:7] offset:3120
	ds_write_b64 v95, v[14:15] offset:4472
	;; [unrolled: 1-line block ×3, first 2 shown]
	ds_write2_b64 v48, v[16:17], v[22:23] offset0:93 offset1:145
	ds_write_b64 v95, v[0:1] offset:3536
	ds_write_b64 v95, v[20:21] offset:4888
	s_and_saveexec_b64 s[2:3], s[0:1]
	s_cbranch_execz .LBB0_9
; %bb.8:
	v_mul_f32_e32 v0, v27, v44
	v_fma_f32 v0, v26, v45, -v0
	v_sub_f32_e32 v4, v41, v0
	v_mul_f32_e32 v6, v25, v43
	v_mul_f32_e32 v0, v57, v47
	v_fmac_f32_e32 v6, v24, v42
	v_fmac_f32_e32 v0, v56, v46
	v_sub_f32_e32 v8, v6, v0
	v_mul_f32_e32 v0, v27, v45
	v_fmac_f32_e32 v0, v26, v44
	v_sub_f32_e32 v9, v40, v0
	v_mul_f32_e32 v0, v25, v42
	v_fma_f32 v5, v24, v43, -v0
	v_mul_f32_e32 v0, v57, v46
	v_fma_f32 v0, v56, v47, -v0
	v_sub_f32_e32 v1, v4, v8
	v_sub_f32_e32 v7, v5, v0
	v_fma_f32 v3, v4, 2.0, -v1
	v_fma_f32 v4, v41, 2.0, -v4
	;; [unrolled: 1-line block ×3, first 2 shown]
	v_add_f32_e32 v0, v9, v7
	v_sub_f32_e32 v5, v4, v5
	v_fma_f32 v2, v9, 2.0, -v0
	v_fma_f32 v7, v4, 2.0, -v5
	;; [unrolled: 1-line block ×4, first 2 shown]
	v_sub_f32_e32 v4, v9, v4
	v_fma_f32 v6, v9, 2.0, -v4
	v_add_u32_e32 v8, 0x400, v95
	ds_write2_b64 v8, v[6:7], v[2:3] offset0:28 offset1:197
	v_add_u32_e32 v2, 0xe00, v95
	ds_write2_b64 v2, v[4:5], v[0:1] offset0:46 offset1:215
.LBB0_9:
	s_or_b64 exec, exec, s[2:3]
	s_waitcnt lgkmcnt(0)
	; wave barrier
	s_waitcnt lgkmcnt(0)
	ds_read2_b64 v[0:3], v95 offset1:52
	v_mad_u64_u32 v[4:5], s[0:1], s10, v64, 0
	s_mov_b32 s0, 0x7ab2bedd
	s_mov_b32 s1, 0x3f583c97
	s_waitcnt lgkmcnt(0)
	v_mul_f32_e32 v6, v90, v1
	v_fmac_f32_e32 v6, v89, v0
	v_cvt_f64_f32_e32 v[6:7], v6
	v_mul_f32_e32 v0, v90, v0
	v_fma_f32 v0, v89, v1, -v0
	v_cvt_f64_f32_e32 v[0:1], v0
	v_mul_f64 v[6:7], v[6:7], s[0:1]
	v_mad_u64_u32 v[8:9], s[2:3], s8, v96, 0
	v_mul_f64 v[0:1], v[0:1], s[0:1]
	v_add_u32_e32 v13, 0x800, v95
	v_mad_u64_u32 v[10:11], s[2:3], s11, v64, v[5:6]
	v_mov_b32_e32 v5, v9
	v_mad_u64_u32 v[11:12], s[2:3], s9, v96, v[5:6]
	v_mov_b32_e32 v5, v10
	v_cvt_f32_f64_e32 v6, v[6:7]
	v_cvt_f32_f64_e32 v7, v[0:1]
	v_lshlrev_b64 v[0:1], 3, v[4:5]
	v_mul_f32_e32 v4, v86, v3
	v_fmac_f32_e32 v4, v85, v2
	v_mul_f32_e32 v2, v86, v2
	v_fma_f32 v2, v85, v3, -v2
	v_mov_b32_e32 v9, v11
	v_mov_b32_e32 v10, s5
	v_cvt_f64_f32_e32 v[2:3], v2
	v_add_co_u32_e32 v11, vcc, s4, v0
	v_addc_co_u32_e32 v12, vcc, v10, v1, vcc
	v_lshlrev_b64 v[0:1], 3, v[8:9]
	v_mul_f64 v[8:9], v[2:3], s[0:1]
	v_add_co_u32_e32 v10, vcc, v11, v0
	v_addc_co_u32_e32 v11, vcc, v12, v1, vcc
	ds_read2_b64 v[0:3], v95 offset0:104 offset1:156
	v_cvt_f64_f32_e32 v[4:5], v4
	global_store_dwordx2 v[10:11], v[6:7], off
	s_mul_i32 s2, s9, 0x1a0
	s_mul_hi_u32 s3, s8, 0x1a0
	s_waitcnt lgkmcnt(0)
	v_mul_f32_e32 v6, v82, v1
	v_fmac_f32_e32 v6, v81, v0
	v_mul_f32_e32 v0, v82, v0
	v_fma_f32 v0, v81, v1, -v0
	v_mul_f64 v[4:5], v[4:5], s[0:1]
	v_cvt_f64_f32_e32 v[0:1], v0
	v_cvt_f64_f32_e32 v[6:7], v6
	s_add_i32 s2, s3, s2
	s_mul_i32 s3, s8, 0x1a0
	v_mul_f64 v[0:1], v[0:1], s[0:1]
	v_mul_f64 v[6:7], v[6:7], s[0:1]
	v_mov_b32_e32 v12, s2
	v_cvt_f32_f64_e32 v4, v[4:5]
	v_cvt_f32_f64_e32 v5, v[8:9]
	v_mov_b32_e32 v9, s2
	v_add_co_u32_e32 v8, vcc, s3, v10
	v_addc_co_u32_e32 v9, vcc, v11, v9, vcc
	global_store_dwordx2 v[8:9], v[4:5], off
	v_cvt_f32_f64_e32 v5, v[0:1]
	v_mul_f32_e32 v0, v76, v3
	v_fmac_f32_e32 v0, v75, v2
	v_cvt_f32_f64_e32 v4, v[6:7]
	v_cvt_f64_f32_e32 v[6:7], v0
	v_mul_f32_e32 v0, v76, v2
	v_fma_f32 v0, v75, v3, -v0
	v_cvt_f64_f32_e32 v[10:11], v0
	v_add_u32_e32 v0, 0x400, v95
	ds_read2_b64 v[0:3], v0 offset0:80 offset1:132
	v_add_co_u32_e32 v8, vcc, s3, v8
	v_addc_co_u32_e32 v9, vcc, v9, v12, vcc
	global_store_dwordx2 v[8:9], v[4:5], off
	v_mul_f64 v[4:5], v[6:7], s[0:1]
	v_mul_f64 v[6:7], v[10:11], s[0:1]
	s_waitcnt lgkmcnt(0)
	v_mul_f32_e32 v10, v88, v1
	v_fmac_f32_e32 v10, v87, v0
	v_mul_f32_e32 v0, v88, v0
	v_fma_f32 v0, v87, v1, -v0
	v_cvt_f64_f32_e32 v[0:1], v0
	v_cvt_f64_f32_e32 v[10:11], v10
	v_cvt_f32_f64_e32 v4, v[4:5]
	v_cvt_f32_f64_e32 v5, v[6:7]
	v_mul_f64 v[0:1], v[0:1], s[0:1]
	v_mul_f64 v[6:7], v[10:11], s[0:1]
	v_mov_b32_e32 v10, s2
	v_add_co_u32_e32 v8, vcc, s3, v8
	v_addc_co_u32_e32 v9, vcc, v9, v10, vcc
	global_store_dwordx2 v[8:9], v[4:5], off
	v_cvt_f32_f64_e32 v5, v[0:1]
	v_mul_f32_e32 v0, v84, v3
	v_fmac_f32_e32 v0, v83, v2
	v_cvt_f32_f64_e32 v4, v[6:7]
	v_cvt_f64_f32_e32 v[6:7], v0
	v_mul_f32_e32 v0, v84, v2
	v_fma_f32 v0, v83, v3, -v0
	v_cvt_f64_f32_e32 v[10:11], v0
	ds_read2_b64 v[0:3], v13 offset0:56 offset1:108
	v_add_co_u32_e32 v8, vcc, s3, v8
	v_addc_co_u32_e32 v9, vcc, v9, v12, vcc
	global_store_dwordx2 v[8:9], v[4:5], off
	v_mul_f64 v[4:5], v[6:7], s[0:1]
	v_mul_f64 v[6:7], v[10:11], s[0:1]
	s_waitcnt lgkmcnt(0)
	v_mul_f32_e32 v10, v80, v1
	v_fmac_f32_e32 v10, v79, v0
	v_mul_f32_e32 v0, v80, v0
	v_fma_f32 v0, v79, v1, -v0
	v_cvt_f64_f32_e32 v[0:1], v0
	v_cvt_f64_f32_e32 v[10:11], v10
	v_cvt_f32_f64_e32 v4, v[4:5]
	v_cvt_f32_f64_e32 v5, v[6:7]
	v_mul_f64 v[0:1], v[0:1], s[0:1]
	v_mul_f64 v[6:7], v[10:11], s[0:1]
	v_mov_b32_e32 v10, s2
	v_add_co_u32_e32 v8, vcc, s3, v8
	v_addc_co_u32_e32 v9, vcc, v9, v10, vcc
	global_store_dwordx2 v[8:9], v[4:5], off
	v_cvt_f32_f64_e32 v5, v[0:1]
	v_mul_f32_e32 v0, v74, v3
	v_fmac_f32_e32 v0, v73, v2
	v_cvt_f32_f64_e32 v4, v[6:7]
	v_cvt_f64_f32_e32 v[6:7], v0
	v_mul_f32_e32 v0, v74, v2
	v_fma_f32 v0, v73, v3, -v0
	v_cvt_f64_f32_e32 v[10:11], v0
	;; [unrolled: 29-line block ×3, first 2 shown]
	v_add_u32_e32 v0, 0x1000, v95
	ds_read2_b64 v[0:3], v0 offset0:8 offset1:60
	v_add_co_u32_e32 v8, vcc, s3, v8
	v_addc_co_u32_e32 v9, vcc, v9, v12, vcc
	global_store_dwordx2 v[8:9], v[4:5], off
	v_mul_f64 v[4:5], v[6:7], s[0:1]
	v_mul_f64 v[6:7], v[10:11], s[0:1]
	s_waitcnt lgkmcnt(0)
	v_mul_f32_e32 v10, v72, v1
	v_fmac_f32_e32 v10, v71, v0
	v_mul_f32_e32 v0, v72, v0
	v_fma_f32 v0, v71, v1, -v0
	v_cvt_f64_f32_e32 v[0:1], v0
	v_cvt_f64_f32_e32 v[10:11], v10
	v_cvt_f32_f64_e32 v4, v[4:5]
	v_cvt_f32_f64_e32 v5, v[6:7]
	v_mul_f64 v[0:1], v[0:1], s[0:1]
	v_mul_f64 v[6:7], v[10:11], s[0:1]
	v_mov_b32_e32 v10, s2
	v_add_co_u32_e32 v8, vcc, s3, v8
	v_addc_co_u32_e32 v9, vcc, v9, v10, vcc
	global_store_dwordx2 v[8:9], v[4:5], off
	v_cvt_f32_f64_e32 v5, v[0:1]
	v_mul_f32_e32 v0, v66, v3
	v_fmac_f32_e32 v0, v65, v2
	v_mul_f32_e32 v2, v66, v2
	v_fma_f32 v2, v65, v3, -v2
	v_cvt_f32_f64_e32 v4, v[6:7]
	v_cvt_f64_f32_e32 v[0:1], v0
	v_cvt_f64_f32_e32 v[2:3], v2
	ds_read_b64 v[6:7], v95 offset:4992
	v_add_co_u32_e32 v8, vcc, s3, v8
	v_addc_co_u32_e32 v9, vcc, v9, v10, vcc
	v_mul_f64 v[0:1], v[0:1], s[0:1]
	v_mul_f64 v[2:3], v[2:3], s[0:1]
	global_store_dwordx2 v[8:9], v[4:5], off
	s_waitcnt lgkmcnt(0)
	v_mul_f32_e32 v4, v68, v7
	v_fmac_f32_e32 v4, v67, v6
	v_mul_f32_e32 v6, v68, v6
	v_fma_f32 v6, v67, v7, -v6
	v_cvt_f64_f32_e32 v[4:5], v4
	v_cvt_f64_f32_e32 v[6:7], v6
	v_cvt_f32_f64_e32 v0, v[0:1]
	v_cvt_f32_f64_e32 v1, v[2:3]
	v_mul_f64 v[2:3], v[4:5], s[0:1]
	v_mul_f64 v[4:5], v[6:7], s[0:1]
	v_mov_b32_e32 v7, s2
	v_add_co_u32_e32 v6, vcc, s3, v8
	v_addc_co_u32_e32 v7, vcc, v9, v7, vcc
	global_store_dwordx2 v[6:7], v[0:1], off
	v_cvt_f32_f64_e32 v0, v[2:3]
	v_cvt_f32_f64_e32 v1, v[4:5]
	v_mov_b32_e32 v3, s2
	v_add_co_u32_e32 v2, vcc, s3, v6
	v_addc_co_u32_e32 v3, vcc, v7, v3, vcc
	global_store_dwordx2 v[2:3], v[0:1], off
.LBB0_10:
	s_endpgm
	.section	.rodata,"a",@progbits
	.p2align	6, 0x0
	.amdhsa_kernel bluestein_single_back_len676_dim1_sp_op_CI_CI
		.amdhsa_group_segment_fixed_size 5408
		.amdhsa_private_segment_fixed_size 0
		.amdhsa_kernarg_size 104
		.amdhsa_user_sgpr_count 6
		.amdhsa_user_sgpr_private_segment_buffer 1
		.amdhsa_user_sgpr_dispatch_ptr 0
		.amdhsa_user_sgpr_queue_ptr 0
		.amdhsa_user_sgpr_kernarg_segment_ptr 1
		.amdhsa_user_sgpr_dispatch_id 0
		.amdhsa_user_sgpr_flat_scratch_init 0
		.amdhsa_user_sgpr_private_segment_size 0
		.amdhsa_uses_dynamic_stack 0
		.amdhsa_system_sgpr_private_segment_wavefront_offset 0
		.amdhsa_system_sgpr_workgroup_id_x 1
		.amdhsa_system_sgpr_workgroup_id_y 0
		.amdhsa_system_sgpr_workgroup_id_z 0
		.amdhsa_system_sgpr_workgroup_info 0
		.amdhsa_system_vgpr_workitem_id 0
		.amdhsa_next_free_vgpr 144
		.amdhsa_next_free_sgpr 20
		.amdhsa_reserve_vcc 1
		.amdhsa_reserve_flat_scratch 0
		.amdhsa_float_round_mode_32 0
		.amdhsa_float_round_mode_16_64 0
		.amdhsa_float_denorm_mode_32 3
		.amdhsa_float_denorm_mode_16_64 3
		.amdhsa_dx10_clamp 1
		.amdhsa_ieee_mode 1
		.amdhsa_fp16_overflow 0
		.amdhsa_exception_fp_ieee_invalid_op 0
		.amdhsa_exception_fp_denorm_src 0
		.amdhsa_exception_fp_ieee_div_zero 0
		.amdhsa_exception_fp_ieee_overflow 0
		.amdhsa_exception_fp_ieee_underflow 0
		.amdhsa_exception_fp_ieee_inexact 0
		.amdhsa_exception_int_div_zero 0
	.end_amdhsa_kernel
	.text
.Lfunc_end0:
	.size	bluestein_single_back_len676_dim1_sp_op_CI_CI, .Lfunc_end0-bluestein_single_back_len676_dim1_sp_op_CI_CI
                                        ; -- End function
	.section	.AMDGPU.csdata,"",@progbits
; Kernel info:
; codeLenInByte = 16848
; NumSgprs: 24
; NumVgprs: 144
; ScratchSize: 0
; MemoryBound: 0
; FloatMode: 240
; IeeeMode: 1
; LDSByteSize: 5408 bytes/workgroup (compile time only)
; SGPRBlocks: 2
; VGPRBlocks: 35
; NumSGPRsForWavesPerEU: 24
; NumVGPRsForWavesPerEU: 144
; Occupancy: 1
; WaveLimiterHint : 1
; COMPUTE_PGM_RSRC2:SCRATCH_EN: 0
; COMPUTE_PGM_RSRC2:USER_SGPR: 6
; COMPUTE_PGM_RSRC2:TRAP_HANDLER: 0
; COMPUTE_PGM_RSRC2:TGID_X_EN: 1
; COMPUTE_PGM_RSRC2:TGID_Y_EN: 0
; COMPUTE_PGM_RSRC2:TGID_Z_EN: 0
; COMPUTE_PGM_RSRC2:TIDIG_COMP_CNT: 0
	.type	__hip_cuid_b63b52de96b1da27,@object ; @__hip_cuid_b63b52de96b1da27
	.section	.bss,"aw",@nobits
	.globl	__hip_cuid_b63b52de96b1da27
__hip_cuid_b63b52de96b1da27:
	.byte	0                               ; 0x0
	.size	__hip_cuid_b63b52de96b1da27, 1

	.ident	"AMD clang version 19.0.0git (https://github.com/RadeonOpenCompute/llvm-project roc-6.4.0 25133 c7fe45cf4b819c5991fe208aaa96edf142730f1d)"
	.section	".note.GNU-stack","",@progbits
	.addrsig
	.addrsig_sym __hip_cuid_b63b52de96b1da27
	.amdgpu_metadata
---
amdhsa.kernels:
  - .args:
      - .actual_access:  read_only
        .address_space:  global
        .offset:         0
        .size:           8
        .value_kind:     global_buffer
      - .actual_access:  read_only
        .address_space:  global
        .offset:         8
        .size:           8
        .value_kind:     global_buffer
      - .actual_access:  read_only
        .address_space:  global
        .offset:         16
        .size:           8
        .value_kind:     global_buffer
      - .actual_access:  read_only
        .address_space:  global
        .offset:         24
        .size:           8
        .value_kind:     global_buffer
      - .actual_access:  read_only
        .address_space:  global
        .offset:         32
        .size:           8
        .value_kind:     global_buffer
      - .offset:         40
        .size:           8
        .value_kind:     by_value
      - .address_space:  global
        .offset:         48
        .size:           8
        .value_kind:     global_buffer
      - .address_space:  global
        .offset:         56
        .size:           8
        .value_kind:     global_buffer
      - .address_space:  global
        .offset:         64
        .size:           8
        .value_kind:     global_buffer
      - .address_space:  global
        .offset:         72
        .size:           8
        .value_kind:     global_buffer
      - .offset:         80
        .size:           4
        .value_kind:     by_value
      - .address_space:  global
        .offset:         88
        .size:           8
        .value_kind:     global_buffer
      - .address_space:  global
        .offset:         96
        .size:           8
        .value_kind:     global_buffer
    .group_segment_fixed_size: 5408
    .kernarg_segment_align: 8
    .kernarg_segment_size: 104
    .language:       OpenCL C
    .language_version:
      - 2
      - 0
    .max_flat_workgroup_size: 52
    .name:           bluestein_single_back_len676_dim1_sp_op_CI_CI
    .private_segment_fixed_size: 0
    .sgpr_count:     24
    .sgpr_spill_count: 0
    .symbol:         bluestein_single_back_len676_dim1_sp_op_CI_CI.kd
    .uniform_work_group_size: 1
    .uses_dynamic_stack: false
    .vgpr_count:     144
    .vgpr_spill_count: 0
    .wavefront_size: 64
amdhsa.target:   amdgcn-amd-amdhsa--gfx906
amdhsa.version:
  - 1
  - 2
...

	.end_amdgpu_metadata
